;; amdgpu-corpus repo=ROCm/rocFFT kind=compiled arch=gfx1030 opt=O3
	.text
	.amdgcn_target "amdgcn-amd-amdhsa--gfx1030"
	.amdhsa_code_object_version 6
	.protected	fft_rtc_fwd_len1768_factors_17_13_8_wgs_136_tpt_136_halfLds_sp_ip_CI_unitstride_sbrr_C2R_dirReg ; -- Begin function fft_rtc_fwd_len1768_factors_17_13_8_wgs_136_tpt_136_halfLds_sp_ip_CI_unitstride_sbrr_C2R_dirReg
	.globl	fft_rtc_fwd_len1768_factors_17_13_8_wgs_136_tpt_136_halfLds_sp_ip_CI_unitstride_sbrr_C2R_dirReg
	.p2align	8
	.type	fft_rtc_fwd_len1768_factors_17_13_8_wgs_136_tpt_136_halfLds_sp_ip_CI_unitstride_sbrr_C2R_dirReg,@function
fft_rtc_fwd_len1768_factors_17_13_8_wgs_136_tpt_136_halfLds_sp_ip_CI_unitstride_sbrr_C2R_dirReg: ; @fft_rtc_fwd_len1768_factors_17_13_8_wgs_136_tpt_136_halfLds_sp_ip_CI_unitstride_sbrr_C2R_dirReg
; %bb.0:
	s_clause 0x2
	s_load_dwordx4 s[8:11], s[4:5], 0x0
	s_load_dwordx2 s[2:3], s[4:5], 0x50
	s_load_dwordx2 s[12:13], s[4:5], 0x18
	v_mul_u32_u24_e32 v1, 0x1e2, v0
	v_mov_b32_e32 v3, 0
	v_add_nc_u32_sdwa v5, s6, v1 dst_sel:DWORD dst_unused:UNUSED_PAD src0_sel:DWORD src1_sel:WORD_1
	v_mov_b32_e32 v1, 0
	v_mov_b32_e32 v6, v3
	v_mov_b32_e32 v2, 0
	s_waitcnt lgkmcnt(0)
	v_cmp_lt_u64_e64 s0, s[10:11], 2
	s_and_b32 vcc_lo, exec_lo, s0
	s_cbranch_vccnz .LBB0_8
; %bb.1:
	s_load_dwordx2 s[0:1], s[4:5], 0x10
	v_mov_b32_e32 v1, 0
	s_add_u32 s6, s12, 8
	v_mov_b32_e32 v2, 0
	s_addc_u32 s7, s13, 0
	s_mov_b64 s[16:17], 1
	s_waitcnt lgkmcnt(0)
	s_add_u32 s14, s0, 8
	s_addc_u32 s15, s1, 0
.LBB0_2:                                ; =>This Inner Loop Header: Depth=1
	s_load_dwordx2 s[18:19], s[14:15], 0x0
                                        ; implicit-def: $vgpr7_vgpr8
	s_mov_b32 s0, exec_lo
	s_waitcnt lgkmcnt(0)
	v_or_b32_e32 v4, s19, v6
	v_cmpx_ne_u64_e32 0, v[3:4]
	s_xor_b32 s1, exec_lo, s0
	s_cbranch_execz .LBB0_4
; %bb.3:                                ;   in Loop: Header=BB0_2 Depth=1
	v_cvt_f32_u32_e32 v4, s18
	v_cvt_f32_u32_e32 v7, s19
	s_sub_u32 s0, 0, s18
	s_subb_u32 s20, 0, s19
	v_fmac_f32_e32 v4, 0x4f800000, v7
	v_rcp_f32_e32 v4, v4
	v_mul_f32_e32 v4, 0x5f7ffffc, v4
	v_mul_f32_e32 v7, 0x2f800000, v4
	v_trunc_f32_e32 v7, v7
	v_fmac_f32_e32 v4, 0xcf800000, v7
	v_cvt_u32_f32_e32 v7, v7
	v_cvt_u32_f32_e32 v4, v4
	v_mul_lo_u32 v8, s0, v7
	v_mul_hi_u32 v9, s0, v4
	v_mul_lo_u32 v10, s20, v4
	v_add_nc_u32_e32 v8, v9, v8
	v_mul_lo_u32 v9, s0, v4
	v_add_nc_u32_e32 v8, v8, v10
	v_mul_hi_u32 v10, v4, v9
	v_mul_lo_u32 v11, v4, v8
	v_mul_hi_u32 v12, v4, v8
	v_mul_hi_u32 v13, v7, v9
	v_mul_lo_u32 v9, v7, v9
	v_mul_hi_u32 v14, v7, v8
	v_mul_lo_u32 v8, v7, v8
	v_add_co_u32 v10, vcc_lo, v10, v11
	v_add_co_ci_u32_e32 v11, vcc_lo, 0, v12, vcc_lo
	v_add_co_u32 v9, vcc_lo, v10, v9
	v_add_co_ci_u32_e32 v9, vcc_lo, v11, v13, vcc_lo
	v_add_co_ci_u32_e32 v10, vcc_lo, 0, v14, vcc_lo
	v_add_co_u32 v8, vcc_lo, v9, v8
	v_add_co_ci_u32_e32 v9, vcc_lo, 0, v10, vcc_lo
	v_add_co_u32 v4, vcc_lo, v4, v8
	v_add_co_ci_u32_e32 v7, vcc_lo, v7, v9, vcc_lo
	v_mul_hi_u32 v8, s0, v4
	v_mul_lo_u32 v10, s20, v4
	v_mul_lo_u32 v9, s0, v7
	v_add_nc_u32_e32 v8, v8, v9
	v_mul_lo_u32 v9, s0, v4
	v_add_nc_u32_e32 v8, v8, v10
	v_mul_hi_u32 v10, v4, v9
	v_mul_lo_u32 v11, v4, v8
	v_mul_hi_u32 v12, v4, v8
	v_mul_hi_u32 v13, v7, v9
	v_mul_lo_u32 v9, v7, v9
	v_mul_hi_u32 v14, v7, v8
	v_mul_lo_u32 v8, v7, v8
	v_add_co_u32 v10, vcc_lo, v10, v11
	v_add_co_ci_u32_e32 v11, vcc_lo, 0, v12, vcc_lo
	v_add_co_u32 v9, vcc_lo, v10, v9
	v_add_co_ci_u32_e32 v9, vcc_lo, v11, v13, vcc_lo
	v_add_co_ci_u32_e32 v10, vcc_lo, 0, v14, vcc_lo
	v_add_co_u32 v8, vcc_lo, v9, v8
	v_add_co_ci_u32_e32 v9, vcc_lo, 0, v10, vcc_lo
	v_add_co_u32 v4, vcc_lo, v4, v8
	v_add_co_ci_u32_e32 v11, vcc_lo, v7, v9, vcc_lo
	v_mul_hi_u32 v13, v5, v4
	v_mad_u64_u32 v[9:10], null, v6, v4, 0
	v_mad_u64_u32 v[7:8], null, v5, v11, 0
	;; [unrolled: 1-line block ×3, first 2 shown]
	v_add_co_u32 v4, vcc_lo, v13, v7
	v_add_co_ci_u32_e32 v7, vcc_lo, 0, v8, vcc_lo
	v_add_co_u32 v4, vcc_lo, v4, v9
	v_add_co_ci_u32_e32 v4, vcc_lo, v7, v10, vcc_lo
	v_add_co_ci_u32_e32 v7, vcc_lo, 0, v12, vcc_lo
	v_add_co_u32 v4, vcc_lo, v4, v11
	v_add_co_ci_u32_e32 v9, vcc_lo, 0, v7, vcc_lo
	v_mul_lo_u32 v10, s19, v4
	v_mad_u64_u32 v[7:8], null, s18, v4, 0
	v_mul_lo_u32 v11, s18, v9
	v_sub_co_u32 v7, vcc_lo, v5, v7
	v_add3_u32 v8, v8, v11, v10
	v_sub_nc_u32_e32 v10, v6, v8
	v_subrev_co_ci_u32_e64 v10, s0, s19, v10, vcc_lo
	v_add_co_u32 v11, s0, v4, 2
	v_add_co_ci_u32_e64 v12, s0, 0, v9, s0
	v_sub_co_u32 v13, s0, v7, s18
	v_sub_co_ci_u32_e32 v8, vcc_lo, v6, v8, vcc_lo
	v_subrev_co_ci_u32_e64 v10, s0, 0, v10, s0
	v_cmp_le_u32_e32 vcc_lo, s18, v13
	v_cmp_eq_u32_e64 s0, s19, v8
	v_cndmask_b32_e64 v13, 0, -1, vcc_lo
	v_cmp_le_u32_e32 vcc_lo, s19, v10
	v_cndmask_b32_e64 v14, 0, -1, vcc_lo
	v_cmp_le_u32_e32 vcc_lo, s18, v7
	;; [unrolled: 2-line block ×3, first 2 shown]
	v_cndmask_b32_e64 v15, 0, -1, vcc_lo
	v_cmp_eq_u32_e32 vcc_lo, s19, v10
	v_cndmask_b32_e64 v7, v15, v7, s0
	v_cndmask_b32_e32 v10, v14, v13, vcc_lo
	v_add_co_u32 v13, vcc_lo, v4, 1
	v_add_co_ci_u32_e32 v14, vcc_lo, 0, v9, vcc_lo
	v_cmp_ne_u32_e32 vcc_lo, 0, v10
	v_cndmask_b32_e32 v8, v14, v12, vcc_lo
	v_cndmask_b32_e32 v10, v13, v11, vcc_lo
	v_cmp_ne_u32_e32 vcc_lo, 0, v7
	v_cndmask_b32_e32 v8, v9, v8, vcc_lo
	v_cndmask_b32_e32 v7, v4, v10, vcc_lo
.LBB0_4:                                ;   in Loop: Header=BB0_2 Depth=1
	s_andn2_saveexec_b32 s0, s1
	s_cbranch_execz .LBB0_6
; %bb.5:                                ;   in Loop: Header=BB0_2 Depth=1
	v_cvt_f32_u32_e32 v4, s18
	s_sub_i32 s1, 0, s18
	v_rcp_iflag_f32_e32 v4, v4
	v_mul_f32_e32 v4, 0x4f7ffffe, v4
	v_cvt_u32_f32_e32 v4, v4
	v_mul_lo_u32 v7, s1, v4
	v_mul_hi_u32 v7, v4, v7
	v_add_nc_u32_e32 v4, v4, v7
	v_mul_hi_u32 v4, v5, v4
	v_mul_lo_u32 v7, v4, s18
	v_add_nc_u32_e32 v8, 1, v4
	v_sub_nc_u32_e32 v7, v5, v7
	v_subrev_nc_u32_e32 v9, s18, v7
	v_cmp_le_u32_e32 vcc_lo, s18, v7
	v_cndmask_b32_e32 v7, v7, v9, vcc_lo
	v_cndmask_b32_e32 v4, v4, v8, vcc_lo
	v_cmp_le_u32_e32 vcc_lo, s18, v7
	v_add_nc_u32_e32 v8, 1, v4
	v_cndmask_b32_e32 v7, v4, v8, vcc_lo
	v_mov_b32_e32 v8, v3
.LBB0_6:                                ;   in Loop: Header=BB0_2 Depth=1
	s_or_b32 exec_lo, exec_lo, s0
	s_load_dwordx2 s[0:1], s[6:7], 0x0
	v_mul_lo_u32 v4, v8, s18
	v_mul_lo_u32 v11, v7, s19
	v_mad_u64_u32 v[9:10], null, v7, s18, 0
	s_add_u32 s16, s16, 1
	s_addc_u32 s17, s17, 0
	s_add_u32 s6, s6, 8
	s_addc_u32 s7, s7, 0
	;; [unrolled: 2-line block ×3, first 2 shown]
	v_add3_u32 v4, v10, v11, v4
	v_sub_co_u32 v5, vcc_lo, v5, v9
	v_sub_co_ci_u32_e32 v4, vcc_lo, v6, v4, vcc_lo
	s_waitcnt lgkmcnt(0)
	v_mul_lo_u32 v6, s1, v5
	v_mul_lo_u32 v4, s0, v4
	v_mad_u64_u32 v[1:2], null, s0, v5, v[1:2]
	v_cmp_ge_u64_e64 s0, s[16:17], s[10:11]
	s_and_b32 vcc_lo, exec_lo, s0
	v_add3_u32 v2, v6, v2, v4
	s_cbranch_vccnz .LBB0_9
; %bb.7:                                ;   in Loop: Header=BB0_2 Depth=1
	v_mov_b32_e32 v5, v7
	v_mov_b32_e32 v6, v8
	s_branch .LBB0_2
.LBB0_8:
	v_mov_b32_e32 v8, v6
	v_mov_b32_e32 v7, v5
.LBB0_9:
	s_lshl_b64 s[0:1], s[10:11], 3
	v_mul_hi_u32 v5, 0x1e1e1e2, v0
	s_add_u32 s0, s12, s0
	s_addc_u32 s1, s13, s1
	s_load_dwordx2 s[0:1], s[0:1], 0x0
	s_load_dwordx2 s[4:5], s[4:5], 0x20
	s_waitcnt lgkmcnt(0)
	v_mul_lo_u32 v3, s0, v8
	v_mul_lo_u32 v4, s1, v7
	v_mad_u64_u32 v[1:2], null, s0, v7, v[1:2]
	v_cmp_gt_u64_e32 vcc_lo, s[4:5], v[7:8]
	v_add3_u32 v2, v4, v2, v3
	v_mul_u32_u24_e32 v3, 0x88, v5
	v_lshlrev_b64 v[42:43], 3, v[1:2]
	v_sub_nc_u32_e32 v40, v0, v3
	s_and_saveexec_b32 s1, vcc_lo
	s_cbranch_execz .LBB0_13
; %bb.10:
	v_mov_b32_e32 v41, 0
	v_add_co_u32 v0, s0, s2, v42
	v_add_co_ci_u32_e64 v1, s0, s3, v43, s0
	v_lshlrev_b64 v[2:3], 3, v[40:41]
	v_lshl_add_u32 v28, v40, 3, 0
	s_mov_b32 s4, exec_lo
	v_add_nc_u32_e32 v29, 0x800, v28
	v_add_co_u32 v2, s0, v0, v2
	v_add_co_ci_u32_e64 v3, s0, v1, v3, s0
	v_add_nc_u32_e32 v30, 0x1000, v28
	v_add_co_u32 v4, s0, 0x800, v2
	v_add_co_ci_u32_e64 v5, s0, 0, v3, s0
	v_add_co_u32 v6, s0, 0x1000, v2
	v_add_co_ci_u32_e64 v7, s0, 0, v3, s0
	;; [unrolled: 2-line block ×5, first 2 shown]
	s_clause 0x7
	global_load_dwordx2 v[10:11], v[2:3], off
	global_load_dwordx2 v[12:13], v[2:3], off offset:1088
	global_load_dwordx2 v[14:15], v[4:5], off offset:128
	;; [unrolled: 1-line block ×7, first 2 shown]
	v_add_co_u32 v2, s0, 0x3000, v2
	v_add_co_ci_u32_e64 v3, s0, 0, v3, s0
	s_clause 0x4
	global_load_dwordx2 v[24:25], v[20:21], off offset:512
	global_load_dwordx2 v[20:21], v[20:21], off offset:1600
	;; [unrolled: 1-line block ×5, first 2 shown]
	v_add_nc_u32_e32 v31, 0x1800, v28
	v_add_nc_u32_e32 v32, 0x2000, v28
	;; [unrolled: 1-line block ×3, first 2 shown]
	s_waitcnt vmcnt(11)
	ds_write2_b64 v28, v[10:11], v[12:13] offset1:136
	s_waitcnt vmcnt(9)
	ds_write2_b64 v29, v[14:15], v[4:5] offset0:16 offset1:152
	s_waitcnt vmcnt(7)
	ds_write2_b64 v30, v[16:17], v[6:7] offset0:32 offset1:168
	;; [unrolled: 2-line block ×5, first 2 shown]
	s_waitcnt vmcnt(0)
	ds_write_b64 v28, v[2:3] offset:13056
	v_cmpx_eq_u32_e32 0x87, v40
	s_cbranch_execz .LBB0_12
; %bb.11:
	v_add_co_u32 v0, s0, 0x3000, v0
	v_add_co_ci_u32_e64 v1, s0, 0, v1, s0
	v_mov_b32_e32 v40, 0x87
	global_load_dwordx2 v[0:1], v[0:1], off offset:1856
	s_waitcnt vmcnt(0)
	ds_write_b64 v41, v[0:1] offset:14144
.LBB0_12:
	s_or_b32 exec_lo, exec_lo, s4
.LBB0_13:
	s_or_b32 exec_lo, exec_lo, s1
	v_lshlrev_b32_e32 v0, 3, v40
	s_waitcnt lgkmcnt(0)
	s_barrier
	buffer_gl0_inv
	s_add_u32 s1, s8, 0x36b8
	v_add_nc_u32_e32 v56, 0, v0
	v_sub_nc_u32_e32 v4, 0, v0
	s_addc_u32 s4, s9, 0
	s_mov_b32 s5, exec_lo
                                        ; implicit-def: $vgpr0_vgpr1
	ds_read_b32 v5, v56
	ds_read_b32 v6, v4 offset:14144
	s_waitcnt lgkmcnt(0)
	v_add_f32_e32 v2, v6, v5
	v_sub_f32_e32 v3, v5, v6
	v_cmpx_ne_u32_e32 0, v40
	s_xor_b32 s5, exec_lo, s5
	s_cbranch_execz .LBB0_15
; %bb.14:
	v_mov_b32_e32 v41, 0
	v_add_f32_e32 v7, v6, v5
	v_sub_f32_e32 v8, v5, v6
	v_lshlrev_b64 v[0:1], 3, v[40:41]
	v_add_co_u32 v0, s0, s1, v0
	v_add_co_ci_u32_e64 v1, s0, s4, v1, s0
	global_load_dwordx2 v[0:1], v[0:1], off
	ds_read_b32 v2, v4 offset:14148
	ds_read_b32 v3, v56 offset:4
	s_waitcnt lgkmcnt(0)
	v_add_f32_e32 v9, v2, v3
	v_sub_f32_e32 v2, v3, v2
	s_waitcnt vmcnt(0)
	v_fma_f32 v5, -v8, v1, v7
	v_fma_f32 v6, v9, v1, -v2
	v_fma_f32 v10, v8, v1, v7
	v_fma_f32 v3, v9, v1, v2
	v_fmac_f32_e32 v5, v0, v9
	v_fmac_f32_e32 v6, v8, v0
	v_fma_f32 v2, -v0, v9, v10
	v_fmac_f32_e32 v3, v8, v0
	v_mov_b32_e32 v0, v40
	v_mov_b32_e32 v1, v41
	ds_write_b64 v4, v[5:6] offset:14144
.LBB0_15:
	s_andn2_saveexec_b32 s0, s5
	s_cbranch_execz .LBB0_17
; %bb.16:
	v_mov_b32_e32 v7, 0
	ds_read_b64 v[0:1], v7 offset:7072
	s_waitcnt lgkmcnt(0)
	v_add_f32_e32 v5, v0, v0
	v_mul_f32_e32 v6, -2.0, v1
	v_mov_b32_e32 v0, 0
	v_mov_b32_e32 v1, 0
	ds_write_b64 v7, v[5:6] offset:7072
.LBB0_17:
	s_or_b32 exec_lo, exec_lo, s0
	v_lshlrev_b64 v[0:1], 3, v[0:1]
	v_add_co_u32 v0, s0, s1, v0
	v_add_co_ci_u32_e64 v1, s0, s4, v1, s0
	s_mov_b32 s1, exec_lo
	v_add_co_u32 v7, s0, 0x800, v0
	global_load_dwordx2 v[5:6], v[0:1], off offset:1088
	v_add_co_ci_u32_e64 v8, s0, 0, v1, s0
	v_add_co_u32 v11, s0, 0x1000, v0
	s_clause 0x1
	global_load_dwordx2 v[9:10], v[7:8], off offset:128
	global_load_dwordx2 v[7:8], v[7:8], off offset:1216
	v_add_co_ci_u32_e64 v12, s0, 0, v1, s0
	s_clause 0x1
	global_load_dwordx2 v[13:14], v[11:12], off offset:256
	global_load_dwordx2 v[11:12], v[11:12], off offset:1344
	ds_write_b64 v56, v[2:3]
	ds_read_b64 v[2:3], v56 offset:1088
	ds_read_b64 v[15:16], v4 offset:13056
	s_waitcnt lgkmcnt(0)
	v_add_f32_e32 v17, v2, v15
	v_add_f32_e32 v18, v16, v3
	v_sub_f32_e32 v19, v2, v15
	v_sub_f32_e32 v2, v3, v16
	s_waitcnt vmcnt(4)
	v_fma_f32 v20, v19, v6, v17
	v_fma_f32 v3, v18, v6, v2
	v_fma_f32 v15, -v19, v6, v17
	v_fma_f32 v16, v18, v6, -v2
	v_fma_f32 v2, -v5, v18, v20
	v_fmac_f32_e32 v3, v19, v5
	v_fmac_f32_e32 v15, v5, v18
	v_fmac_f32_e32 v16, v19, v5
	ds_write_b64 v56, v[2:3] offset:1088
	ds_write_b64 v4, v[15:16] offset:13056
	ds_read_b64 v[2:3], v56 offset:2176
	ds_read_b64 v[5:6], v4 offset:11968
	s_waitcnt lgkmcnt(0)
	v_add_f32_e32 v15, v2, v5
	v_add_f32_e32 v16, v6, v3
	v_sub_f32_e32 v17, v2, v5
	v_sub_f32_e32 v2, v3, v6
	s_waitcnt vmcnt(3)
	v_fma_f32 v18, v17, v10, v15
	v_fma_f32 v3, v16, v10, v2
	v_fma_f32 v5, -v17, v10, v15
	v_fma_f32 v6, v16, v10, -v2
	v_fma_f32 v2, -v9, v16, v18
	v_fmac_f32_e32 v3, v17, v9
	v_fmac_f32_e32 v5, v9, v16
	v_fmac_f32_e32 v6, v17, v9
	ds_write_b64 v56, v[2:3] offset:2176
	ds_write_b64 v4, v[5:6] offset:11968
	;; [unrolled: 18-line block ×5, first 2 shown]
	v_cmpx_gt_u32_e32 0x44, v40
	s_cbranch_execz .LBB0_19
; %bb.18:
	v_add_co_u32 v0, s0, 0x1800, v0
	v_add_co_ci_u32_e64 v1, s0, 0, v1, s0
	global_load_dwordx2 v[0:1], v[0:1], off offset:384
	ds_read_b64 v[2:3], v56 offset:6528
	ds_read_b64 v[5:6], v4 offset:7616
	s_waitcnt lgkmcnt(0)
	v_add_f32_e32 v7, v2, v5
	v_add_f32_e32 v8, v6, v3
	v_sub_f32_e32 v9, v2, v5
	v_sub_f32_e32 v3, v3, v6
	s_waitcnt vmcnt(0)
	v_fma_f32 v10, v9, v1, v7
	v_fma_f32 v2, v8, v1, v3
	v_fma_f32 v5, -v9, v1, v7
	v_fma_f32 v6, v8, v1, -v3
	v_fma_f32 v1, -v0, v8, v10
	v_fmac_f32_e32 v2, v9, v0
	v_fmac_f32_e32 v5, v0, v8
	;; [unrolled: 1-line block ×3, first 2 shown]
	ds_write_b64 v56, v[1:2] offset:6528
	ds_write_b64 v4, v[5:6] offset:7616
.LBB0_19:
	s_or_b32 exec_lo, exec_lo, s1
	s_waitcnt lgkmcnt(0)
	s_barrier
	buffer_gl0_inv
	s_barrier
	buffer_gl0_inv
	ds_read2_b64 v[8:11], v56 offset1:104
	ds_read_b64 v[4:5], v56 offset:13312
	v_add_nc_u32_e32 v0, 0x400, v56
	v_add_nc_u32_e32 v1, 0x2c00, v56
	ds_read2_b64 v[24:27], v0 offset0:80 offset1:184
	ds_read2_b64 v[12:15], v1 offset0:48 offset1:152
	v_add_nc_u32_e32 v0, 0xc00, v56
	v_add_nc_u32_e32 v1, 0x2400, v56
	;; [unrolled: 1-line block ×5, first 2 shown]
	ds_read2_b64 v[20:23], v0 offset0:32 offset1:136
	ds_read2_b64 v[16:19], v1 offset0:96 offset1:200
	ds_read2_b64 v[32:35], v41 offset0:112 offset1:216
	ds_read2_b64 v[28:31], v57 offset0:16 offset1:120
	s_mov_b32 s1, exec_lo
	ds_read2_b64 v[36:39], v59 offset0:64 offset1:168
	s_waitcnt lgkmcnt(0)
	s_barrier
	buffer_gl0_inv
	v_sub_f32_e32 v67, v11, v5
	v_sub_f32_e32 v73, v10, v4
	v_add_f32_e32 v58, v4, v10
	v_add_f32_e32 v62, v5, v11
	v_mul_f32_e32 v78, 0xbf2c7751, v67
	v_mul_f32_e32 v84, 0xbf2c7751, v73
	v_sub_f32_e32 v75, v24, v14
	v_sub_f32_e32 v70, v25, v15
	v_add_f32_e32 v60, v14, v24
	v_add_f32_e32 v61, v15, v25
	v_sub_f32_e32 v80, v26, v12
	v_sub_f32_e32 v72, v27, v13
	v_fmamk_f32 v0, v58, 0x3f3d2fb0, v78
	v_fma_f32 v1, 0x3f3d2fb0, v62, -v84
	v_mul_f32_e32 v87, 0xbf7ee86f, v70
	v_mul_f32_e32 v90, 0xbf7ee86f, v75
	v_add_f32_e32 v63, v12, v26
	v_mul_f32_e32 v86, 0xbf4c4adb, v72
	v_add_f32_e32 v0, v8, v0
	v_add_f32_e32 v1, v9, v1
	v_fmamk_f32 v2, v60, 0x3dbcf732, v87
	v_fma_f32 v3, 0x3dbcf732, v61, -v90
	v_add_f32_e32 v64, v13, v27
	v_mul_f32_e32 v89, 0xbf4c4adb, v80
	v_sub_f32_e32 v79, v21, v19
	v_fmamk_f32 v6, v63, 0xbf1a4643, v86
	v_add_f32_e32 v0, v2, v0
	v_add_f32_e32 v1, v3, v1
	v_fma_f32 v2, 0xbf1a4643, v64, -v89
	v_add_f32_e32 v65, v18, v20
	v_mul_f32_e32 v95, 0xbe3c28d5, v79
	v_sub_f32_e32 v91, v20, v18
	v_add_f32_e32 v0, v6, v0
	v_add_f32_e32 v1, v2, v1
	;; [unrolled: 1-line block ×3, first 2 shown]
	v_sub_f32_e32 v81, v23, v17
	v_fmamk_f32 v2, v65, 0xbf7ba420, v95
	v_mul_f32_e32 v100, 0xbe3c28d5, v91
	v_sub_f32_e32 v92, v22, v16
	v_add_f32_e32 v66, v16, v22
	v_mul_f32_e32 v96, 0x3f06c442, v81
	v_add_f32_e32 v0, v2, v0
	v_fma_f32 v2, 0xbf7ba420, v68, -v100
	v_add_f32_e32 v69, v17, v23
	v_mul_f32_e32 v101, 0x3f06c442, v92
	v_sub_f32_e32 v83, v33, v31
	v_sub_f32_e32 v94, v32, v30
	v_fmamk_f32 v3, v66, 0xbf59a7d5, v96
	v_add_f32_e32 v1, v2, v1
	v_fma_f32 v2, 0xbf59a7d5, v69, -v101
	v_add_f32_e32 v71, v30, v32
	v_mul_f32_e32 v99, 0x3f763a35, v83
	v_add_f32_e32 v76, v31, v33
	v_mul_f32_e32 v105, 0x3f763a35, v94
	v_sub_f32_e32 v88, v35, v29
	v_sub_f32_e32 v93, v34, v28
	v_add_f32_e32 v0, v3, v0
	v_add_f32_e32 v1, v2, v1
	v_fmamk_f32 v2, v71, 0xbe8c1d8e, v99
	v_fma_f32 v3, 0xbe8c1d8e, v76, -v105
	v_add_f32_e32 v74, v28, v34
	v_mul_f32_e32 v102, 0x3f65296c, v88
	v_add_f32_e32 v77, v29, v35
	v_mul_f32_e32 v103, 0x3f65296c, v93
	v_mul_f32_e32 v111, 0xbf65296c, v67
	v_add_f32_e32 v0, v2, v0
	v_add_f32_e32 v1, v3, v1
	v_fmamk_f32 v2, v74, 0x3ee437d1, v102
	v_fma_f32 v3, 0x3ee437d1, v77, -v103
	v_fmamk_f32 v6, v58, 0x3ee437d1, v111
	v_mul_f32_e32 v114, 0xbf4c4adb, v70
	v_mul_f32_e32 v109, 0x3e3c28d5, v72
	v_add_f32_e32 v0, v2, v0
	v_add_f32_e32 v1, v3, v1
	;; [unrolled: 1-line block ×3, first 2 shown]
	v_fmamk_f32 v3, v60, 0xbf1a4643, v114
	v_mul_f32_e32 v117, 0xbf65296c, v73
	v_mul_f32_e32 v108, 0x3f763a35, v79
	;; [unrolled: 1-line block ×3, first 2 shown]
	v_sub_f32_e32 v97, v37, v39
	v_add_f32_e32 v2, v3, v2
	v_fmamk_f32 v3, v63, 0xbf7ba420, v109
	v_fma_f32 v6, 0x3ee437d1, v62, -v117
	v_mul_f32_e32 v112, 0x3f2c7751, v81
	v_fma_f32 v7, 0xbf1a4643, v61, -v119
	v_mul_f32_e32 v118, 0x3e3c28d5, v80
	v_add_f32_e32 v2, v3, v2
	v_fmamk_f32 v3, v65, 0xbe8c1d8e, v108
	v_add_f32_e32 v6, v9, v6
	v_add_f32_e32 v82, v38, v36
	v_mul_f32_e32 v104, 0x3eb8f4ab, v97
	v_mul_f32_e32 v113, 0xbeb8f4ab, v83
	v_add_f32_e32 v2, v3, v2
	v_fmamk_f32 v3, v66, 0x3f3d2fb0, v112
	v_add_f32_e32 v6, v7, v6
	v_fma_f32 v7, 0xbf7ba420, v64, -v118
	v_mul_f32_e32 v116, 0x3f763a35, v91
	v_fmamk_f32 v44, v82, 0x3f6eb680, v104
	v_add_f32_e32 v2, v3, v2
	v_fmamk_f32 v3, v71, 0x3f6eb680, v113
	v_mul_f32_e32 v107, 0xbf7ee86f, v88
	v_add_f32_e32 v6, v7, v6
	v_fma_f32 v7, 0xbe8c1d8e, v68, -v116
	v_mul_f32_e32 v115, 0x3f2c7751, v92
	v_add_f32_e32 v3, v3, v2
	v_fmamk_f32 v46, v74, 0x3dbcf732, v107
	v_add_f32_e32 v2, v44, v0
	v_add_f32_e32 v0, v7, v6
	v_fma_f32 v6, 0x3f3d2fb0, v69, -v115
	v_mul_f32_e32 v123, 0xbf7ee86f, v67
	v_mul_f32_e32 v133, 0xbf7ee86f, v73
	v_add_f32_e32 v7, v46, v3
	v_mul_f32_e32 v120, 0xbeb8f4ab, v94
	v_add_f32_e32 v0, v6, v0
	v_fmamk_f32 v3, v58, 0x3dbcf732, v123
	v_mul_f32_e32 v127, 0xbe3c28d5, v70
	v_fma_f32 v6, 0x3dbcf732, v62, -v133
	v_mul_f32_e32 v136, 0xbe3c28d5, v75
	v_fma_f32 v46, 0x3f6eb680, v76, -v120
	v_add_f32_e32 v3, v8, v3
	v_fmamk_f32 v47, v60, 0xbf7ba420, v127
	v_add_f32_e32 v6, v9, v6
	v_fma_f32 v48, 0xbf7ba420, v61, -v136
	v_mul_f32_e32 v128, 0x3f763a35, v72
	v_mul_f32_e32 v137, 0x3f763a35, v80
	v_add_f32_e32 v0, v46, v0
	v_add_f32_e32 v3, v47, v3
	;; [unrolled: 1-line block ×3, first 2 shown]
	v_fmamk_f32 v46, v63, 0xbe8c1d8e, v128
	v_fma_f32 v47, 0xbe8c1d8e, v64, -v137
	v_mul_f32_e32 v130, 0x3eb8f4ab, v79
	v_mul_f32_e32 v138, 0x3eb8f4ab, v91
	;; [unrolled: 1-line block ×3, first 2 shown]
	v_add_f32_e32 v3, v46, v3
	v_add_f32_e32 v6, v47, v6
	v_fmamk_f32 v46, v65, 0x3f6eb680, v130
	v_fma_f32 v47, 0x3f6eb680, v68, -v138
	v_mul_f32_e32 v124, 0xbf65296c, v81
	v_mul_f32_e32 v131, 0xbf65296c, v92
	v_fma_f32 v48, 0x3dbcf732, v77, -v121
	v_add_f32_e32 v3, v46, v3
	v_add_f32_e32 v6, v47, v6
	v_fmamk_f32 v46, v66, 0x3ee437d1, v124
	v_fma_f32 v47, 0x3ee437d1, v69, -v131
	v_mul_f32_e32 v125, 0xbf06c442, v83
	v_mul_f32_e32 v132, 0xbf06c442, v94
	v_sub_f32_e32 v98, v36, v38
	v_add_f32_e32 v48, v48, v0
	v_add_f32_e32 v0, v46, v3
	;; [unrolled: 1-line block ×3, first 2 shown]
	v_fmamk_f32 v6, v71, 0xbf59a7d5, v125
	v_fma_f32 v46, 0xbf59a7d5, v76, -v132
	v_mul_f32_e32 v126, 0x3f4c4adb, v88
	v_mul_f32_e32 v134, 0x3f4c4adb, v93
	v_add_f32_e32 v85, v39, v37
	v_mul_f32_e32 v106, 0x3eb8f4ab, v98
	v_mul_f32_e32 v110, 0xbf06c442, v97
	;; [unrolled: 1-line block ×3, first 2 shown]
	v_add_f32_e32 v0, v6, v0
	v_add_f32_e32 v3, v46, v3
	v_fmamk_f32 v6, v74, 0xbf1a4643, v126
	v_fma_f32 v46, 0xbf1a4643, v77, -v134
	v_mul_f32_e32 v129, 0x3f2c7751, v97
	v_mul_f32_e32 v135, 0x3f2c7751, v98
	v_fma_f32 v45, 0x3f6eb680, v85, -v106
	v_fmamk_f32 v44, v82, 0xbf59a7d5, v110
	v_fma_f32 v47, 0xbf59a7d5, v85, -v122
	v_add_f32_e32 v6, v6, v0
	v_add_f32_e32 v46, v46, v3
	v_fmamk_f32 v49, v82, 0x3f3d2fb0, v129
	v_fma_f32 v50, 0x3f3d2fb0, v85, -v135
	v_add_f32_e32 v3, v45, v1
	v_add_f32_e32 v0, v44, v7
	;; [unrolled: 1-line block ×5, first 2 shown]
	v_cmpx_gt_u32_e32 0x68, v40
	s_cbranch_execz .LBB0_21
; %bb.20:
	v_mul_f32_e32 v152, 0xbe8c1d8e, v62
	v_mul_f32_e32 v140, 0xbf59a7d5, v61
	;; [unrolled: 1-line block ×5, first 2 shown]
	v_fmamk_f32 v44, v73, 0x3f763a35, v152
	v_fmamk_f32 v46, v75, 0xbf06c442, v140
	;; [unrolled: 1-line block ×3, first 2 shown]
	v_mul_f32_e32 v142, 0x3ee437d1, v68
	v_mul_f32_e32 v149, 0x3f2c7751, v72
	v_add_f32_e32 v44, v9, v44
	v_fmamk_f32 v47, v60, 0xbf59a7d5, v148
	v_add_f32_e32 v45, v8, v45
	v_fmamk_f32 v48, v80, 0xbf2c7751, v139
	v_mul_f32_e32 v141, 0xbf7ba420, v69
	v_add_f32_e32 v44, v46, v44
	v_mul_f32_e32 v150, 0xbf65296c, v79
	v_fmamk_f32 v46, v63, 0x3f3d2fb0, v149
	v_add_f32_e32 v45, v47, v45
	v_fmamk_f32 v47, v91, 0x3f65296c, v142
	v_add_f32_e32 v44, v48, v44
	v_mul_f32_e32 v144, 0xbe3c28d5, v81
	v_fmamk_f32 v48, v65, 0x3ee437d1, v150
	v_add_f32_e32 v45, v46, v45
	v_fmamk_f32 v46, v92, 0x3e3c28d5, v141
	v_add_f32_e32 v44, v47, v44
	v_mul_f32_e32 v153, 0x3dbcf732, v76
	v_fmamk_f32 v47, v66, 0xbf7ba420, v144
	v_add_f32_e32 v45, v48, v45
	v_mul_f32_e32 v145, 0x3f7ee86f, v83
	v_add_f32_e32 v44, v46, v44
	v_fmamk_f32 v46, v94, 0xbf7ee86f, v153
	v_mul_f32_e32 v146, 0x3f6eb680, v77
	v_add_f32_e32 v45, v47, v45
	v_fmamk_f32 v47, v71, 0x3dbcf732, v145
	;; [unrolled: 3-line block ×5, first 2 shown]
	v_mul_f32_e32 v55, 0xbf4c4adb, v67
	v_add_f32_e32 v47, v47, v45
	v_mul_f32_e32 v155, 0xbe8c1d8e, v61
	v_mul_f32_e32 v156, 0x3f763a35, v70
	v_add_f32_e32 v45, v46, v44
	v_fmamk_f32 v44, v73, 0x3f4c4adb, v54
	v_fmamk_f32 v48, v58, 0xbf1a4643, v55
	;; [unrolled: 1-line block ×3, first 2 shown]
	v_mul_f32_e32 v157, 0x3f6eb680, v64
	v_fmamk_f32 v50, v60, 0xbe8c1d8e, v156
	v_add_f32_e32 v44, v9, v44
	v_add_f32_e32 v48, v8, v48
	v_mul_f32_e32 v158, 0xbeb8f4ab, v72
	v_mul_f32_e32 v159, 0xbf59a7d5, v68
	;; [unrolled: 1-line block ×3, first 2 shown]
	v_add_f32_e32 v44, v49, v44
	v_fmamk_f32 v49, v80, 0x3eb8f4ab, v157
	v_add_f32_e32 v48, v50, v48
	v_fmamk_f32 v50, v63, 0x3f6eb680, v158
	v_mul_f32_e32 v161, 0x3dbcf732, v69
	v_mul_f32_e32 v162, 0x3f7ee86f, v81
	v_add_f32_e32 v44, v49, v44
	v_fmamk_f32 v49, v91, 0x3f06c442, v159
	v_add_f32_e32 v48, v50, v48
	v_fmamk_f32 v50, v65, 0xbf59a7d5, v160
	v_mul_f32_e32 v163, 0x3f3d2fb0, v76
	v_mul_f32_e32 v154, 0xbf4c4adb, v97
	;; [unrolled: 6-line block ×3, first 2 shown]
	v_add_f32_e32 v44, v49, v44
	v_fmamk_f32 v49, v94, 0x3f2c7751, v163
	v_fmamk_f32 v46, v82, 0xbf1a4643, v154
	v_add_f32_e32 v48, v50, v48
	v_fmamk_f32 v50, v71, 0x3f3d2fb0, v164
	v_mul_f32_e32 v166, 0xbe3c28d5, v88
	v_add_f32_e32 v49, v49, v44
	v_fmamk_f32 v51, v93, 0x3e3c28d5, v165
	v_mul_f32_e32 v167, 0x3ee437d1, v85
	v_add_f32_e32 v48, v50, v48
	v_fmamk_f32 v50, v74, 0xbf7ba420, v166
	v_add_f32_e32 v44, v46, v47
	v_add_f32_e32 v46, v51, v49
	v_fmamk_f32 v47, v98, 0xbf65296c, v167
	v_mul_f32_e32 v52, 0xbf59a7d5, v62
	v_mul_f32_e32 v53, 0xbf06c442, v67
	v_add_f32_e32 v48, v50, v48
	v_mul_f32_e32 v169, 0x3ee437d1, v61
	v_add_f32_e32 v47, v47, v46
	v_fmamk_f32 v46, v73, 0x3f06c442, v52
	v_fmamk_f32 v50, v58, 0xbf59a7d5, v53
	v_mul_f32_e32 v170, 0x3f65296c, v70
	v_fmamk_f32 v51, v75, 0xbf65296c, v169
	v_mul_f32_e32 v171, 0x3dbcf732, v64
	v_add_f32_e32 v46, v9, v46
	v_add_f32_e32 v50, v8, v50
	v_fmamk_f32 v172, v60, 0x3ee437d1, v170
	v_mul_f32_e32 v173, 0xbf7ee86f, v72
	v_mul_f32_e32 v174, 0xbf1a4643, v68
	v_add_f32_e32 v46, v51, v46
	v_fmamk_f32 v51, v80, 0x3f7ee86f, v171
	v_add_f32_e32 v50, v172, v50
	v_fmamk_f32 v172, v63, 0x3dbcf732, v173
	v_mul_f32_e32 v175, 0x3f4c4adb, v79
	v_mul_f32_e32 v176, 0x3f6eb680, v69
	v_add_f32_e32 v46, v51, v46
	v_fmamk_f32 v51, v91, 0xbf4c4adb, v174
	;; [unrolled: 6-line block ×3, first 2 shown]
	v_mul_f32_e32 v178, 0xbf7ba420, v76
	v_add_f32_e32 v50, v172, v50
	v_fmamk_f32 v172, v66, 0x3f6eb680, v177
	v_mul_f32_e32 v179, 0xbe3c28d5, v83
	v_fmamk_f32 v49, v82, 0x3ee437d1, v168
	v_add_f32_e32 v51, v51, v46
	v_fmamk_f32 v180, v94, 0x3e3c28d5, v178
	v_mul_f32_e32 v181, 0x3f3d2fb0, v77
	v_add_f32_e32 v50, v172, v50
	v_fmamk_f32 v172, v71, 0xbf7ba420, v179
	v_mul_f32_e32 v182, 0x3f2c7751, v88
	v_add_f32_e32 v46, v49, v48
	v_add_f32_e32 v48, v180, v51
	v_fmamk_f32 v49, v93, 0xbf2c7751, v181
	v_add_f32_e32 v50, v172, v50
	v_fmamk_f32 v51, v74, 0x3f3d2fb0, v182
	v_mul_f32_e32 v172, 0xbf7ba420, v62
	v_mul_f32_e32 v180, 0xbe8c1d8e, v85
	v_add_f32_e32 v48, v49, v48
	v_mul_f32_e32 v186, 0xbe3c28d5, v67
	v_add_f32_e32 v50, v51, v50
	v_fmamk_f32 v49, v73, 0x3e3c28d5, v172
	v_mul_f32_e32 v51, 0x3f6eb680, v61
	v_fmamk_f32 v184, v98, 0x3f763a35, v180
	v_mul_f32_e32 v189, 0xbf59a7d5, v64
	v_mul_f32_e32 v190, 0x3f3d2fb0, v68
	v_add_f32_e32 v187, v9, v49
	v_fmamk_f32 v188, v75, 0xbeb8f4ab, v51
	v_add_f32_e32 v49, v184, v48
	v_fmamk_f32 v48, v58, 0xbf7ba420, v186
	v_mul_f32_e32 v184, 0x3eb8f4ab, v70
	v_mul_f32_e32 v192, 0xbf06c442, v72
	v_add_f32_e32 v187, v188, v187
	v_fmamk_f32 v188, v80, 0x3f06c442, v189
	v_add_f32_e32 v48, v8, v48
	;; [unrolled: 6-line block ×3, first 2 shown]
	v_fmamk_f32 v191, v63, 0xbf59a7d5, v192
	v_mul_f32_e32 v194, 0x3f2c7751, v79
	v_mul_f32_e32 v195, 0x3ee437d1, v76
	v_add_f32_e32 v187, v188, v187
	v_fmamk_f32 v188, v92, 0x3f4c4adb, v193
	v_fmamk_f32 v185, v82, 0xbe8c1d8e, v183
	v_add_f32_e32 v48, v191, v48
	v_fmamk_f32 v191, v65, 0x3f3d2fb0, v194
	v_mul_f32_e32 v197, 0xbe8c1d8e, v77
	v_add_f32_e32 v187, v188, v187
	v_fmamk_f32 v188, v94, 0xbf65296c, v195
	v_fmac_f32_e32 v172, 0xbe3c28d5, v73
	v_add_f32_e32 v191, v191, v48
	v_add_f32_e32 v48, v185, v50
	v_fmamk_f32 v185, v93, 0x3f763a35, v197
	v_add_f32_e32 v50, v188, v187
	v_add_f32_e32 v172, v9, v172
	v_fmac_f32_e32 v51, 0x3eb8f4ab, v75
	v_fma_f32 v184, 0x3f6eb680, v60, -v184
	v_mul_f32_e32 v196, 0xbf4c4adb, v81
	v_add_f32_e32 v50, v185, v50
	v_fma_f32 v185, 0xbf7ba420, v58, -v186
	v_add_f32_e32 v51, v51, v172
	v_fmac_f32_e32 v52, 0xbf06c442, v73
	v_fmamk_f32 v198, v66, 0xbf1a4643, v196
	v_mul_f32_e32 v199, 0x3f65296c, v83
	v_add_f32_e32 v185, v8, v185
	v_fmac_f32_e32 v169, 0x3f65296c, v75
	v_add_f32_e32 v52, v9, v52
	v_fma_f32 v53, 0xbf59a7d5, v58, -v53
	v_add_f32_e32 v187, v198, v191
	v_add_f32_e32 v172, v184, v185
	v_fma_f32 v184, 0xbf59a7d5, v63, -v192
	v_fmamk_f32 v188, v71, 0x3ee437d1, v199
	v_mul_f32_e32 v191, 0xbf763a35, v88
	v_add_f32_e32 v52, v169, v52
	v_fmac_f32_e32 v171, 0xbf7ee86f, v80
	v_add_f32_e32 v172, v184, v172
	v_fma_f32 v184, 0x3f3d2fb0, v65, -v194
	v_add_f32_e32 v53, v8, v53
	v_fma_f32 v170, 0x3ee437d1, v60, -v170
	v_add_f32_e32 v186, v188, v187
	v_mul_f32_e32 v188, 0x3f7ee86f, v97
	v_add_f32_e32 v172, v184, v172
	v_fma_f32 v184, 0xbf1a4643, v66, -v196
	v_fma_f32 v169, 0xbe8c1d8e, v74, -v191
	v_add_f32_e32 v52, v171, v52
	v_fmac_f32_e32 v174, 0x3f4c4adb, v91
	v_add_f32_e32 v170, v170, v53
	v_add_f32_e32 v172, v184, v172
	v_fma_f32 v184, 0x3ee437d1, v71, -v199
	v_fma_f32 v171, 0x3dbcf732, v63, -v173
	v_add_f32_e32 v52, v174, v52
	v_fmac_f32_e32 v176, 0xbeb8f4ab, v92
	v_fmac_f32_e32 v54, 0xbf4c4adb, v73
	v_add_f32_e32 v172, v184, v172
	v_add_f32_e32 v170, v171, v170
	v_fma_f32 v171, 0xbf1a4643, v65, -v175
	v_add_f32_e32 v173, v176, v52
	v_add_f32_e32 v54, v9, v54
	;; [unrolled: 1-line block ×3, first 2 shown]
	v_fma_f32 v172, 0x3dbcf732, v82, -v188
	v_fmac_f32_e32 v155, 0x3f763a35, v75
	v_fma_f32 v55, 0xbf1a4643, v58, -v55
	v_fmac_f32_e32 v157, 0xbeb8f4ab, v80
	v_fma_f32 v156, 0xbe8c1d8e, v60, -v156
	v_add_f32_e32 v52, v172, v169
	v_add_f32_e32 v169, v171, v170
	v_fma_f32 v170, 0x3f6eb680, v66, -v177
	v_add_f32_e32 v54, v155, v54
	v_add_f32_e32 v55, v8, v55
	v_fmac_f32_e32 v159, 0xbf06c442, v91
	v_fmac_f32_e32 v161, 0x3f7ee86f, v92
	v_add_f32_e32 v169, v170, v169
	v_fma_f32 v170, 0xbf7ba420, v71, -v179
	v_add_f32_e32 v54, v157, v54
	v_add_f32_e32 v156, v156, v55
	v_fma_f32 v157, 0x3f6eb680, v63, -v158
	v_fma_f32 v158, 0xbe8c1d8e, v82, -v183
	v_add_f32_e32 v155, v170, v169
	v_fma_f32 v169, 0x3f3d2fb0, v74, -v182
	v_add_f32_e32 v54, v159, v54
	v_add_f32_e32 v156, v157, v156
	v_fma_f32 v157, 0xbf59a7d5, v65, -v160
	v_fmac_f32_e32 v152, 0xbf763a35, v73
	v_add_f32_e32 v155, v169, v155
	v_add_f32_e32 v159, v161, v54
	v_fmac_f32_e32 v140, 0x3f06c442, v75
	v_fma_f32 v147, 0xbe8c1d8e, v58, -v147
	v_add_f32_e32 v152, v9, v152
	v_add_f32_e32 v54, v158, v155
	v_add_f32_e32 v155, v157, v156
	v_fma_f32 v156, 0x3dbcf732, v66, -v162
	v_fmac_f32_e32 v139, 0x3f2c7751, v80
	v_add_f32_e32 v140, v140, v152
	v_add_f32_e32 v147, v8, v147
	v_fma_f32 v148, 0xbf59a7d5, v60, -v148
	v_add_f32_e32 v155, v156, v155
	v_fma_f32 v156, 0x3f3d2fb0, v71, -v164
	v_add_f32_e32 v139, v139, v140
	v_fmac_f32_e32 v142, 0xbf65296c, v91
	v_add_f32_e32 v147, v148, v147
	v_fma_f32 v148, 0x3f3d2fb0, v63, -v149
	v_add_f32_e32 v152, v156, v155
	v_fma_f32 v155, 0xbf7ba420, v74, -v166
	v_add_f32_e32 v139, v142, v139
	v_fmac_f32_e32 v141, 0xbe3c28d5, v92
	v_fma_f32 v142, 0x3ee437d1, v82, -v168
	v_add_f32_e32 v147, v148, v147
	v_add_f32_e32 v152, v155, v152
	v_fma_f32 v148, 0x3ee437d1, v65, -v150
	v_add_f32_e32 v141, v141, v139
	v_fma_f32 v144, 0xbf7ba420, v66, -v144
	v_fmac_f32_e32 v153, 0x3f7ee86f, v94
	v_add_f32_e32 v139, v142, v152
	v_mul_f32_e32 v142, 0x3dbcf732, v62
	v_add_f32_e32 v147, v148, v147
	v_mul_f32_e32 v148, 0xbf7ba420, v61
	v_add_f32_e32 v141, v153, v141
	v_fmac_f32_e32 v146, 0xbeb8f4ab, v93
	v_add_f32_e32 v133, v133, v142
	v_add_f32_e32 v142, v144, v147
	v_fma_f32 v144, 0x3dbcf732, v71, -v145
	v_add_f32_e32 v136, v136, v148
	v_mul_f32_e32 v145, 0xbe8c1d8e, v64
	v_add_f32_e32 v133, v9, v133
	v_add_f32_e32 v141, v146, v141
	v_add_f32_e32 v142, v144, v142
	v_fma_f32 v144, 0x3f6eb680, v74, -v151
	v_fmac_f32_e32 v143, 0xbf4c4adb, v98
	v_add_f32_e32 v133, v136, v133
	v_add_f32_e32 v136, v137, v145
	v_mul_f32_e32 v137, 0x3f6eb680, v68
	v_add_f32_e32 v142, v144, v142
	v_fma_f32 v144, 0xbf1a4643, v82, -v154
	v_mul_f32_e32 v75, 0xbf2c7751, v75
	v_add_f32_e32 v133, v136, v133
	v_add_f32_e32 v138, v138, v137
	;; [unrolled: 1-line block ×3, first 2 shown]
	v_mul_f32_e32 v141, 0x3dbcf732, v58
	v_add_f32_e32 v136, v144, v142
	v_mul_f32_e32 v142, 0x3ee437d1, v69
	v_add_f32_e32 v133, v138, v133
	v_mul_f32_e32 v138, 0xbf7ba420, v60
	v_sub_f32_e32 v123, v141, v123
	v_mul_f32_e32 v141, 0x3f3d2fb0, v58
	v_add_f32_e32 v131, v131, v142
	v_mul_f32_e32 v142, 0xbf59a7d5, v76
	v_sub_f32_e32 v127, v138, v127
	v_add_f32_e32 v123, v8, v123
	v_mul_f32_e32 v138, 0x3f3d2fb0, v62
	v_add_f32_e32 v131, v131, v133
	v_mul_f32_e32 v133, 0xbe8c1d8e, v63
	v_add_f32_e32 v132, v132, v142
	v_add_f32_e32 v123, v127, v123
	v_mul_f32_e32 v127, 0xbf1a4643, v77
	v_mul_f32_e32 v142, 0x3ee437d1, v58
	v_sub_f32_e32 v128, v133, v128
	v_add_f32_e32 v131, v132, v131
	v_mul_f32_e32 v132, 0x3f6eb680, v65
	v_mul_f32_e32 v133, 0x3ee437d1, v62
	v_add_f32_e32 v127, v134, v127
	v_add_f32_e32 v123, v128, v123
	v_mul_f32_e32 v128, 0x3f3d2fb0, v85
	v_sub_f32_e32 v130, v132, v130
	v_add_f32_e32 v117, v117, v133
	v_add_f32_e32 v127, v127, v131
	v_mul_f32_e32 v131, 0xbf1a4643, v60
	v_add_f32_e32 v128, v135, v128
	v_mul_f32_e32 v135, 0x3ee437d1, v66
	;; [unrolled: 2-line block ×3, first 2 shown]
	v_add_f32_e32 v117, v9, v117
	v_sub_f32_e32 v111, v142, v111
	v_sub_f32_e32 v124, v135, v124
	v_mul_f32_e32 v135, 0xbf59a7d5, v71
	v_add_f32_e32 v119, v119, v130
	v_sub_f32_e32 v114, v131, v114
	v_add_f32_e32 v111, v8, v111
	v_add_f32_e32 v123, v124, v123
	v_mul_f32_e32 v124, 0xbf7ba420, v64
	v_sub_f32_e32 v125, v135, v125
	v_add_f32_e32 v117, v119, v117
	v_mul_f32_e32 v135, 0xbf7ba420, v63
	v_mul_f32_e32 v132, 0x3dbcf732, v61
	v_add_f32_e32 v118, v118, v124
	v_add_f32_e32 v123, v125, v123
	v_mul_f32_e32 v125, 0xbe8c1d8e, v68
	v_add_f32_e32 v111, v114, v111
	v_mul_f32_e32 v114, 0x3dbcf732, v77
	;; [unrolled: 2-line block ×4, first 2 shown]
	v_sub_f32_e32 v109, v135, v109
	v_add_f32_e32 v138, v84, v138
	v_sub_f32_e32 v118, v118, v129
	v_mul_f32_e32 v129, 0x3f3d2fb0, v69
	v_add_f32_e32 v116, v116, v117
	v_mul_f32_e32 v130, 0xbf1a4643, v64
	v_mul_f32_e32 v119, 0xbf1a4643, v74
	v_mul_f32_e32 v142, 0x3f3d2fb0, v66
	v_add_f32_e32 v115, v115, v129
	v_mul_f32_e32 v129, 0x3f6eb680, v76
	v_add_f32_e32 v114, v121, v114
	v_add_f32_e32 v109, v109, v111
	v_sub_f32_e32 v108, v125, v108
	v_add_f32_e32 v115, v115, v116
	v_add_f32_e32 v120, v120, v129
	v_add_f32_e32 v90, v90, v132
	v_add_f32_e32 v84, v128, v127
	v_add_f32_e32 v127, v9, v138
	v_sub_f32_e32 v119, v119, v126
	v_add_f32_e32 v115, v120, v115
	v_mul_f32_e32 v126, 0xbf7ba420, v68
	v_add_f32_e32 v108, v108, v109
	v_sub_f32_e32 v109, v142, v112
	v_add_f32_e32 v89, v89, v130
	v_add_f32_e32 v112, v114, v115
	;; [unrolled: 1-line block ×3, first 2 shown]
	v_mul_f32_e32 v134, 0x3dbcf732, v60
	v_mul_f32_e32 v117, 0xbf59a7d5, v69
	v_sub_f32_e32 v78, v141, v78
	v_add_f32_e32 v100, v100, v126
	v_add_f32_e32 v89, v89, v115
	v_mul_f32_e32 v133, 0xbf1a4643, v63
	v_mul_f32_e32 v116, 0xbe8c1d8e, v76
	v_add_f32_e32 v78, v8, v78
	v_sub_f32_e32 v87, v134, v87
	v_add_f32_e32 v89, v100, v89
	v_add_f32_e32 v100, v101, v117
	v_mul_f32_e32 v124, 0xbf7ba420, v65
	v_sub_f32_e32 v86, v133, v86
	v_add_f32_e32 v78, v87, v78
	v_add_f32_e32 v119, v119, v123
	;; [unrolled: 1-line block ×4, first 2 shown]
	v_mul_f32_e32 v105, 0xbeb8f4ab, v73
	v_mul_f32_e32 v123, 0xbf59a7d5, v66
	;; [unrolled: 1-line block ×3, first 2 shown]
	v_add_f32_e32 v73, v86, v78
	v_sub_f32_e32 v78, v124, v95
	v_add_f32_e32 v86, v100, v87
	v_fmamk_f32 v87, v62, 0x3f6eb680, v105
	v_fmac_f32_e32 v189, 0xbf06c442, v80
	v_add_f32_e32 v95, v103, v120
	v_add_f32_e32 v73, v78, v73
	v_sub_f32_e32 v78, v123, v96
	v_add_f32_e32 v87, v9, v87
	v_fmamk_f32 v96, v61, 0x3f3d2fb0, v75
	v_mul_f32_e32 v80, 0xbf65296c, v80
	v_fmac_f32_e32 v190, 0x3f2c7751, v91
	v_mul_f32_e32 v131, 0xbe8c1d8e, v71
	v_mul_f32_e32 v125, 0x3f6eb680, v85
	v_add_f32_e32 v86, v95, v86
	v_add_f32_e32 v87, v96, v87
	v_fmamk_f32 v95, v64, 0x3ee437d1, v80
	v_mul_f32_e32 v91, 0xbf7ee86f, v91
	v_fmac_f32_e32 v193, 0xbf4c4adb, v92
	v_mul_f32_e32 v135, 0x3ee437d1, v74
	v_add_f32_e32 v73, v78, v73
	v_sub_f32_e32 v78, v131, v99
	v_add_f32_e32 v96, v106, v125
	v_add_f32_e32 v87, v95, v87
	v_fmamk_f32 v95, v68, 0x3dbcf732, v91
	v_mul_f32_e32 v92, 0xbf763a35, v92
	v_mul_f32_e32 v67, 0xbeb8f4ab, v67
	v_add_f32_e32 v11, v9, v11
	v_add_f32_e32 v10, v8, v10
	v_fmac_f32_e32 v195, 0x3f65296c, v94
	v_fmac_f32_e32 v178, 0xbe3c28d5, v94
	;; [unrolled: 1-line block ×3, first 2 shown]
	v_add_f32_e32 v78, v78, v73
	v_sub_f32_e32 v99, v135, v102
	v_add_f32_e32 v73, v96, v86
	v_add_f32_e32 v86, v95, v87
	v_fmamk_f32 v87, v69, 0xbe8c1d8e, v92
	v_mul_f32_e32 v94, 0xbf4c4adb, v94
	v_fma_f32 v95, 0x3f6eb680, v58, -v67
	v_mul_f32_e32 v70, 0xbf2c7751, v70
	v_add_f32_e32 v11, v11, v25
	v_add_f32_e32 v10, v10, v24
	;; [unrolled: 1-line block ×4, first 2 shown]
	v_fmamk_f32 v87, v76, 0xbf1a4643, v94
	v_add_f32_e32 v95, v8, v95
	v_fma_f32 v99, 0x3f3d2fb0, v60, -v70
	v_mul_f32_e32 v72, 0xbf65296c, v72
	v_add_f32_e32 v11, v11, v27
	v_add_f32_e32 v10, v10, v26
	;; [unrolled: 1-line block ×4, first 2 shown]
	v_fma_f32 v95, 0x3ee437d1, v63, -v72
	v_mul_f32_e32 v24, 0xbf7ee86f, v79
	v_add_f32_e32 v11, v11, v21
	v_add_f32_e32 v10, v10, v20
	v_mul_f32_e32 v27, 0xbf763a35, v81
	v_add_f32_e32 v79, v95, v87
	v_fma_f32 v26, 0x3dbcf732, v65, -v24
	v_add_f32_e32 v11, v11, v23
	v_add_f32_e32 v10, v10, v22
	v_mul_f32_e32 v25, 0xbf06c442, v93
	v_fma_f32 v21, 0xbe8c1d8e, v66, -v27
	v_add_f32_e32 v20, v26, v79
	v_mul_f32_e32 v26, 0xbf4c4adb, v83
	v_add_f32_e32 v11, v11, v33
	v_add_f32_e32 v10, v10, v32
	v_fmamk_f32 v81, v77, 0xbf59a7d5, v25
	v_add_f32_e32 v20, v21, v20
	v_fma_f32 v21, 0xbf1a4643, v71, -v26
	v_mul_f32_e32 v23, 0xbf06c442, v88
	v_mul_f32_e32 v32, 0xbe3c28d5, v98
	v_add_f32_e32 v11, v11, v35
	v_add_f32_e32 v10, v10, v34
	;; [unrolled: 1-line block ×4, first 2 shown]
	v_fma_f32 v21, 0xbf59a7d5, v74, -v23
	v_mul_f32_e32 v33, 0xbe3c28d5, v97
	v_fmamk_f32 v34, v85, 0xbf7ba420, v32
	v_add_f32_e32 v35, v11, v37
	v_add_f32_e32 v10, v10, v36
	;; [unrolled: 1-line block ×3, first 2 shown]
	v_fma_f32 v21, 0xbf7ba420, v82, -v33
	v_add_f32_e32 v11, v34, v22
	v_add_f32_e32 v22, v35, v39
	v_add_f32_e32 v34, v10, v38
	v_fma_f32 v35, 0x3f6eb680, v62, -v105
	v_fmac_f32_e32 v67, 0x3f6eb680, v58
	v_fmamk_f32 v187, v74, 0xbe8c1d8e, v191
	v_add_f32_e32 v10, v21, v20
	v_add_f32_e32 v20, v22, v29
	;; [unrolled: 1-line block ×4, first 2 shown]
	v_fma_f32 v22, 0x3f3d2fb0, v61, -v75
	v_add_f32_e32 v8, v8, v67
	v_fmac_f32_e32 v70, 0x3f3d2fb0, v60
	v_add_f32_e32 v186, v187, v186
	v_mul_f32_e32 v187, 0x3dbcf732, v85
	v_add_f32_e32 v20, v20, v31
	v_add_f32_e32 v21, v21, v30
	;; [unrolled: 1-line block ×3, first 2 shown]
	v_fma_f32 v22, 0x3ee437d1, v64, -v80
	v_add_f32_e32 v8, v70, v8
	v_fmac_f32_e32 v72, 0x3ee437d1, v63
	v_fmamk_f32 v185, v98, 0xbf7ee86f, v187
	v_add_f32_e32 v189, v189, v51
	v_add_f32_e32 v17, v20, v17
	;; [unrolled: 1-line block ×4, first 2 shown]
	v_fma_f32 v20, 0x3dbcf732, v68, -v91
	v_add_f32_e32 v8, v72, v8
	v_fmac_f32_e32 v24, 0x3dbcf732, v65
	v_mul_f32_e32 v129, 0x3f6eb680, v71
	v_add_f32_e32 v51, v185, v50
	v_add_f32_e32 v185, v190, v189
	;; [unrolled: 1-line block ×5, first 2 shown]
	v_fma_f32 v18, 0xbe8c1d8e, v69, -v92
	v_add_f32_e32 v8, v24, v8
	v_fmac_f32_e32 v27, 0xbe8c1d8e, v66
	v_mul_f32_e32 v121, 0x3dbcf732, v74
	v_add_f32_e32 v108, v109, v108
	v_sub_f32_e32 v109, v129, v113
	v_add_f32_e32 v185, v193, v185
	v_add_f32_e32 v13, v17, v13
	;; [unrolled: 1-line block ×4, first 2 shown]
	v_fma_f32 v16, 0xbf1a4643, v76, -v94
	v_add_f32_e32 v8, v27, v8
	v_fmac_f32_e32 v26, 0xbf1a4643, v71
	v_mul_f32_e32 v111, 0x3f6eb680, v82
	v_mul_f32_e32 v143, 0xbf59a7d5, v82
	;; [unrolled: 1-line block ×3, first 2 shown]
	v_add_f32_e32 v108, v109, v108
	v_sub_f32_e32 v107, v121, v107
	v_add_f32_e32 v171, v178, v173
	v_fmac_f32_e32 v181, 0x3f2c7751, v93
	v_add_f32_e32 v157, v163, v159
	v_fmac_f32_e32 v165, 0xbe3c28d5, v93
	;; [unrolled: 2-line block ×3, first 2 shown]
	v_add_f32_e32 v13, v13, v15
	v_add_f32_e32 v12, v12, v14
	;; [unrolled: 1-line block ×3, first 2 shown]
	v_fma_f32 v14, 0xbf59a7d5, v77, -v25
	v_add_f32_e32 v8, v26, v8
	v_fmac_f32_e32 v23, 0xbf59a7d5, v74
	v_add_f32_e32 v114, v122, v132
	v_add_f32_e32 v101, v107, v108
	v_sub_f32_e32 v107, v143, v110
	v_sub_f32_e32 v96, v111, v104
	v_add_f32_e32 v171, v181, v171
	v_fmac_f32_e32 v180, 0xbf763a35, v98
	v_add_f32_e32 v157, v165, v157
	v_fmac_f32_e32 v167, 0x3f65296c, v98
	v_fmamk_f32 v50, v82, 0x3dbcf732, v188
	v_add_f32_e32 v184, v197, v185
	v_fmac_f32_e32 v187, 0x3f7ee86f, v98
	v_add_f32_e32 v5, v13, v5
	v_add_f32_e32 v4, v12, v4
	;; [unrolled: 1-line block ×3, first 2 shown]
	v_fma_f32 v12, 0xbf7ba420, v85, -v32
	v_add_f32_e32 v8, v23, v8
	v_fmac_f32_e32 v33, 0xbf7ba420, v82
	v_mad_u32_u24 v13, 0x88, v40, 0
	v_add_f32_e32 v90, v114, v112
	v_add_f32_e32 v89, v107, v101
	;; [unrolled: 1-line block ×10, first 2 shown]
	ds_write2_b64 v13, v[4:5], v[10:11] offset1:1
	ds_write2_b64 v13, v[72:73], v[89:90] offset0:2 offset1:3
	ds_write2_b64 v13, v[83:84], v[136:137] offset0:4 offset1:5
	;; [unrolled: 1-line block ×7, first 2 shown]
	ds_write_b64 v13, v[8:9] offset:128
.LBB0_21:
	s_or_b32 exec_lo, exec_lo, s1
	v_and_b32_e32 v4, 0xff, v40
	v_mov_b32_e32 v5, 12
	s_waitcnt lgkmcnt(0)
	s_barrier
	buffer_gl0_inv
	v_mul_lo_u16 v4, 0xf1, v4
	v_cmp_gt_u32_e64 s0, 0x55, v40
	v_lshrrev_b16 v16, 12, v4
	v_mul_lo_u16 v4, v16, 17
	v_sub_nc_u16 v17, v40, v4
	v_mul_u32_u24_sdwa v4, v17, v5 dst_sel:DWORD dst_unused:UNUSED_PAD src0_sel:BYTE_0 src1_sel:DWORD
	v_lshlrev_b32_e32 v4, 3, v4
	s_clause 0x5
	global_load_dwordx4 v[18:21], v4, s[8:9]
	global_load_dwordx4 v[22:25], v4, s[8:9] offset:16
	global_load_dwordx4 v[28:31], v4, s[8:9] offset:32
	;; [unrolled: 1-line block ×5, first 2 shown]
	v_add_nc_u32_e32 v4, 0x800, v56
	ds_read2_b64 v[8:11], v56 offset1:136
	ds_read2_b64 v[48:51], v4 offset0:16 offset1:152
	ds_read2_b64 v[52:55], v41 offset0:32 offset1:168
	;; [unrolled: 1-line block ×3, first 2 shown]
	v_add_nc_u32_e32 v4, 0x2800, v56
	ds_read2_b64 v[62:65], v57 offset0:64 offset1:200
	ds_read2_b64 v[66:69], v4 offset0:80 offset1:216
	ds_read_b64 v[70:71], v56 offset:13056
	s_waitcnt vmcnt(0) lgkmcnt(0)
	s_barrier
	buffer_gl0_inv
	v_mul_f32_e32 v15, v19, v11
	v_mul_f32_e32 v41, v19, v10
	;; [unrolled: 1-line block ×22, first 2 shown]
	v_fma_f32 v47, v18, v10, -v15
	v_mul_f32_e32 v73, v25, v53
	v_mul_f32_e32 v25, v25, v52
	v_fmac_f32_e32 v41, v18, v11
	v_fma_f32 v48, v20, v48, -v26
	v_fma_f32 v26, v54, v28, -v74
	v_fmac_f32_e32 v23, v55, v28
	v_add_f32_e32 v28, v47, v8
	v_fmac_f32_e32 v57, v20, v49
	v_fma_f32 v49, v22, v50, -v27
	v_fma_f32 v27, v24, v52, -v73
	v_fmac_f32_e32 v25, v24, v53
	v_fma_f32 v24, v58, v30, -v29
	v_add_f32_e32 v29, v41, v9
	v_add_f32_e32 v28, v28, v48
	v_fmac_f32_e32 v72, v22, v51
	v_fma_f32 v18, v64, v36, -v35
	v_fma_f32 v10, v70, v46, -v45
	v_add_f32_e32 v29, v29, v57
	v_add_f32_e32 v28, v28, v49
	v_fmac_f32_e32 v21, v59, v30
	v_fma_f32 v22, v60, v32, -v31
	v_fmac_f32_e32 v19, v61, v32
	v_fma_f32 v20, v62, v34, -v33
	v_fmac_f32_e32 v4, v65, v36
	v_fmac_f32_e32 v13, v71, v46
	v_add_f32_e32 v30, v47, v10
	v_sub_f32_e32 v32, v47, v10
	v_add_f32_e32 v45, v27, v18
	v_sub_f32_e32 v47, v27, v18
	v_add_f32_e32 v29, v29, v72
	v_add_f32_e32 v27, v28, v27
	v_fmac_f32_e32 v14, v63, v34
	v_fma_f32 v15, v66, v38, -v37
	v_fmac_f32_e32 v5, v67, v38
	v_fma_f32 v11, v68, v44, -v39
	v_fmac_f32_e32 v12, v69, v44
	v_sub_f32_e32 v33, v41, v13
	v_add_f32_e32 v46, v25, v4
	v_sub_f32_e32 v50, v25, v4
	v_add_f32_e32 v51, v26, v20
	;; [unrolled: 2-line block ×3, first 2 shown]
	v_add_f32_e32 v26, v27, v26
	v_add_f32_e32 v31, v41, v13
	;; [unrolled: 1-line block ×4, first 2 shown]
	v_sub_f32_e32 v36, v48, v11
	v_sub_f32_e32 v37, v57, v12
	;; [unrolled: 1-line block ×4, first 2 shown]
	v_add_f32_e32 v52, v23, v14
	v_sub_f32_e32 v54, v23, v14
	v_add_f32_e32 v55, v24, v22
	v_sub_f32_e32 v59, v24, v22
	v_mul_f32_e32 v48, 0xbeedf032, v33
	v_mul_f32_e32 v57, 0xbeedf032, v32
	;; [unrolled: 1-line block ×11, first 2 shown]
	v_add_f32_e32 v23, v25, v23
	v_add_f32_e32 v24, v26, v24
	;; [unrolled: 1-line block ×5, first 2 shown]
	v_sub_f32_e32 v60, v21, v19
	v_mul_f32_e32 v32, 0xbe750f2a, v32
	v_mul_f32_e32 v69, 0xbf52af12, v37
	;; [unrolled: 1-line block ×49, first 2 shown]
	v_fma_f32 v49, 0x3f62ad3f, v30, -v48
	v_fmamk_f32 v72, v31, 0x3f62ad3f, v57
	v_fmac_f32_e32 v48, 0x3f62ad3f, v30
	v_fma_f32 v57, 0x3f62ad3f, v31, -v57
	v_fma_f32 v112, 0x3f116cb1, v30, -v61
	v_fmamk_f32 v113, v31, 0x3f116cb1, v62
	v_fmac_f32_e32 v61, 0x3f116cb1, v30
	v_fma_f32 v62, 0x3f116cb1, v31, -v62
	;; [unrolled: 4-line block ×5, first 2 shown]
	v_fma_f32 v120, 0xbf788fa5, v30, -v33
	v_fmac_f32_e32 v33, 0xbf788fa5, v30
	v_add_f32_e32 v21, v23, v21
	v_add_f32_e32 v22, v24, v22
	v_fmamk_f32 v121, v31, 0xbf788fa5, v32
	v_fma_f32 v30, 0xbf788fa5, v31, -v32
	v_fma_f32 v31, 0x3f116cb1, v34, -v69
	v_fmamk_f32 v32, v35, 0x3f116cb1, v70
	v_fmac_f32_e32 v69, 0x3f116cb1, v34
	v_fma_f32 v70, 0x3f116cb1, v35, -v70
	v_fma_f32 v122, 0xbeb58ec6, v34, -v71
	v_fmamk_f32 v123, v35, 0xbeb58ec6, v73
	v_fmac_f32_e32 v71, 0xbeb58ec6, v34
	v_fma_f32 v73, 0xbeb58ec6, v35, -v73
	v_fma_f32 v124, 0xbf788fa5, v34, -v74
	v_fmamk_f32 v125, v35, 0xbf788fa5, v75
	v_fmac_f32_e32 v74, 0xbf788fa5, v34
	v_fma_f32 v75, 0xbf788fa5, v35, -v75
	v_fma_f32 v126, 0xbf3f9e67, v34, -v76
	v_fmamk_f32 v127, v35, 0xbf3f9e67, v77
	v_fmac_f32_e32 v76, 0xbf3f9e67, v34
	v_fma_f32 v77, 0xbf3f9e67, v35, -v77
	v_fma_f32 v128, 0x3df6dbef, v34, -v78
	v_fmamk_f32 v129, v35, 0x3df6dbef, v79
	v_fmac_f32_e32 v78, 0x3df6dbef, v34
	v_fma_f32 v79, 0x3df6dbef, v35, -v79
	v_fma_f32 v130, 0x3f62ad3f, v34, -v37
	v_fmamk_f32 v131, v35, 0x3f62ad3f, v36
	v_fmac_f32_e32 v37, 0x3f62ad3f, v34
	v_fma_f32 v34, 0x3f62ad3f, v35, -v36
	v_fma_f32 v35, 0x3df6dbef, v38, -v80
	v_fmamk_f32 v36, v39, 0x3df6dbef, v81
	v_fmac_f32_e32 v80, 0x3df6dbef, v38
	v_fma_f32 v81, 0x3df6dbef, v39, -v81
	v_fma_f32 v132, 0xbf788fa5, v38, -v82
	v_fmamk_f32 v133, v39, 0xbf788fa5, v83
	v_fmac_f32_e32 v82, 0xbf788fa5, v38
	v_fma_f32 v83, 0xbf788fa5, v39, -v83
	v_fma_f32 v134, 0xbeb58ec6, v38, -v84
	v_fmamk_f32 v135, v39, 0xbeb58ec6, v85
	v_fmac_f32_e32 v84, 0xbeb58ec6, v38
	v_fma_f32 v85, 0xbeb58ec6, v39, -v85
	v_fma_f32 v136, 0x3f62ad3f, v38, -v86
	v_fmamk_f32 v137, v39, 0x3f62ad3f, v87
	v_fmac_f32_e32 v86, 0x3f62ad3f, v38
	v_fma_f32 v87, 0x3f62ad3f, v39, -v87
	v_fma_f32 v138, 0x3f116cb1, v38, -v88
	v_fmamk_f32 v139, v39, 0x3f116cb1, v89
	v_fmac_f32_e32 v88, 0x3f116cb1, v38
	v_fma_f32 v89, 0x3f116cb1, v39, -v89
	v_fma_f32 v140, 0xbf3f9e67, v38, -v44
	v_fmamk_f32 v141, v39, 0xbf3f9e67, v41
	v_fmac_f32_e32 v44, 0xbf3f9e67, v38
	v_fma_f32 v38, 0xbf3f9e67, v39, -v41
	v_fma_f32 v39, 0xbeb58ec6, v45, -v90
	v_fmamk_f32 v41, v46, 0xbeb58ec6, v91
	v_fmac_f32_e32 v90, 0xbeb58ec6, v45
	v_fma_f32 v91, 0xbeb58ec6, v46, -v91
	v_fma_f32 v142, 0xbf3f9e67, v45, -v92
	v_fmamk_f32 v143, v46, 0xbf3f9e67, v93
	v_fmac_f32_e32 v92, 0xbf3f9e67, v45
	v_fma_f32 v93, 0xbf3f9e67, v46, -v93
	v_fma_f32 v144, 0x3f62ad3f, v45, -v94
	v_fmamk_f32 v145, v46, 0x3f62ad3f, v95
	v_fmac_f32_e32 v94, 0x3f62ad3f, v45
	v_fma_f32 v95, 0x3f62ad3f, v46, -v95
	v_fma_f32 v146, 0x3df6dbef, v45, -v96
	v_fmamk_f32 v147, v46, 0x3df6dbef, v97
	v_fmac_f32_e32 v96, 0x3df6dbef, v45
	v_fma_f32 v97, 0x3df6dbef, v46, -v97
	v_fma_f32 v148, 0xbf788fa5, v45, -v98
	v_fmamk_f32 v149, v46, 0xbf788fa5, v99
	v_fmac_f32_e32 v98, 0xbf788fa5, v45
	v_fma_f32 v99, 0xbf788fa5, v46, -v99
	v_fma_f32 v150, 0x3f116cb1, v45, -v50
	v_fmamk_f32 v151, v46, 0x3f116cb1, v47
	v_fmac_f32_e32 v50, 0x3f116cb1, v45
	v_fma_f32 v45, 0x3f116cb1, v46, -v47
	v_fma_f32 v46, 0xbf3f9e67, v51, -v100
	v_fmamk_f32 v47, v52, 0xbf3f9e67, v101
	v_fmac_f32_e32 v100, 0xbf3f9e67, v51
	v_fma_f32 v101, 0xbf3f9e67, v52, -v101
	v_fma_f32 v152, 0x3df6dbef, v51, -v102
	v_fmamk_f32 v153, v52, 0x3df6dbef, v103
	v_fmac_f32_e32 v102, 0x3df6dbef, v51
	v_fma_f32 v103, 0x3df6dbef, v52, -v103
	v_fma_f32 v154, 0x3f116cb1, v51, -v104
	v_fmamk_f32 v155, v52, 0x3f116cb1, v105
	v_fmac_f32_e32 v104, 0x3f116cb1, v51
	v_fma_f32 v105, 0x3f116cb1, v52, -v105
	v_fma_f32 v156, 0xbf788fa5, v51, -v106
	v_fmamk_f32 v157, v52, 0xbf788fa5, v107
	v_fmac_f32_e32 v106, 0xbf788fa5, v51
	v_fma_f32 v107, 0xbf788fa5, v52, -v107
	v_fma_f32 v158, 0x3f62ad3f, v51, -v108
	v_fmamk_f32 v159, v52, 0x3f62ad3f, v109
	v_fmac_f32_e32 v108, 0x3f62ad3f, v51
	v_fma_f32 v109, 0x3f62ad3f, v52, -v109
	v_fma_f32 v160, 0xbeb58ec6, v51, -v54
	v_fmamk_f32 v161, v52, 0xbeb58ec6, v53
	v_fmac_f32_e32 v54, 0xbeb58ec6, v51
	v_fma_f32 v51, 0xbeb58ec6, v52, -v53
	v_add_f32_e32 v28, v49, v8
	v_add_f32_e32 v29, v72, v9
	;; [unrolled: 1-line block ×78, first 2 shown]
	v_mul_f32_e32 v110, 0xbe750f2a, v60
	v_mul_f32_e32 v111, 0xbe750f2a, v59
	v_add_f32_e32 v49, v125, v72
	v_add_f32_e32 v31, v83, v33
	;; [unrolled: 1-line block ×14, first 2 shown]
	v_mul_f32_e32 v8, 0x3eedf032, v60
	v_mul_f32_e32 v10, 0x3eedf032, v59
	v_add_f32_e32 v33, v135, v49
	v_add_f32_e32 v35, v85, v53
	;; [unrolled: 1-line block ×10, first 2 shown]
	v_fma_f32 v4, 0xbf788fa5, v55, -v110
	v_add_f32_e32 v45, v51, v9
	v_fmamk_f32 v5, v58, 0xbf788fa5, v111
	v_fmac_f32_e32 v110, 0xbf788fa5, v55
	v_fma_f32 v9, 0xbf788fa5, v58, -v111
	v_fma_f32 v11, 0x3f62ad3f, v55, -v8
	v_fmamk_f32 v13, v58, 0x3f62ad3f, v10
	v_add_f32_e32 v65, v129, v115
	v_add_f32_e32 v31, v145, v33
	;; [unrolled: 1-line block ×9, first 2 shown]
	v_mul_f32_e32 v9, 0xbf29c268, v60
	v_add_f32_e32 v22, v11, v25
	v_fmac_f32_e32 v8, 0x3f62ad3f, v55
	v_fma_f32 v11, 0x3f62ad3f, v58, -v10
	v_add_f32_e32 v23, v13, v26
	v_mul_f32_e32 v13, 0xbf29c268, v59
	v_add_f32_e32 v49, v87, v63
	v_add_f32_e32 v53, v139, v65
	v_add_f32_e32 v57, v88, v66
	v_add_f32_e32 v35, v147, v37
	v_add_f32_e32 v29, v154, v30
	v_add_f32_e32 v30, v155, v31
	v_add_f32_e32 v31, v104, v32
	v_add_f32_e32 v32, v105, v33
	v_fma_f32 v15, 0xbf3f9e67, v55, -v9
	v_add_f32_e32 v10, v8, v27
	v_add_f32_e32 v11, v11, v28
	v_fmamk_f32 v8, v58, 0xbf3f9e67, v13
	v_fmac_f32_e32 v9, 0xbf3f9e67, v55
	v_fma_f32 v13, 0xbf3f9e67, v58, -v13
	v_mul_f32_e32 v28, 0x3f52af12, v59
	v_add_f32_e32 v68, v130, v116
	v_add_f32_e32 v69, v131, v117
	v_add_f32_e32 v37, v97, v49
	v_add_f32_e32 v39, v149, v53
	v_add_f32_e32 v41, v98, v57
	v_add_f32_e32 v33, v157, v35
	v_add_f32_e32 v24, v15, v29
	v_mul_f32_e32 v15, 0x3f52af12, v60
	v_add_f32_e32 v25, v8, v30
	v_add_f32_e32 v8, v9, v31
	;; [unrolled: 1-line block ×3, first 2 shown]
	v_fmamk_f32 v13, v58, 0x3f116cb1, v28
	v_mul_f32_e32 v30, 0xbf6f5d39, v60
	v_mul_f32_e32 v29, 0xbf6f5d39, v59
	v_add_f32_e32 v62, v140, v68
	v_add_f32_e32 v63, v141, v69
	;; [unrolled: 1-line block ×5, first 2 shown]
	v_fma_f32 v26, 0x3f116cb1, v55, -v15
	v_fmac_f32_e32 v15, 0x3f116cb1, v55
	v_add_f32_e32 v27, v13, v33
	v_fma_f32 v13, 0x3f116cb1, v58, -v28
	v_fma_f32 v28, 0xbeb58ec6, v55, -v30
	v_fmamk_f32 v31, v58, 0xbeb58ec6, v29
	v_fmac_f32_e32 v30, 0xbeb58ec6, v55
	v_mov_b32_e32 v32, 0x6e8
	v_mov_b32_e32 v33, 3
	v_add_f32_e32 v48, v150, v62
	v_add_f32_e32 v49, v151, v63
	;; [unrolled: 1-line block ×5, first 2 shown]
	v_fma_f32 v13, 0xbeb58ec6, v58, -v29
	v_add_f32_e32 v29, v31, v37
	v_add_f32_e32 v12, v30, v12
	v_mul_f32_e32 v30, 0x3f7e222b, v60
	v_mul_f32_e32 v31, 0x3f7e222b, v59
	v_mul_u32_u24_sdwa v32, v16, v32 dst_sel:DWORD dst_unused:UNUSED_PAD src0_sel:WORD_0 src1_sel:DWORD
	v_lshlrev_b32_sdwa v33, v33, v17 dst_sel:DWORD dst_unused:UNUSED_PAD src0_sel:DWORD src1_sel:BYTE_0
	v_add_f32_e32 v39, v160, v48
	v_add_f32_e32 v41, v161, v49
	v_fma_f32 v34, 0x3df6dbef, v55, -v30
	v_fmamk_f32 v35, v58, 0x3df6dbef, v31
	v_fmac_f32_e32 v30, 0x3df6dbef, v55
	v_fma_f32 v31, 0x3df6dbef, v58, -v31
	v_add3_u32 v32, 0, v32, v33
	v_add_f32_e32 v28, v28, v36
	v_add_f32_e32 v16, v34, v39
	;; [unrolled: 1-line block ×5, first 2 shown]
	v_add_nc_u32_e32 v34, 0xd00, v56
	v_add_f32_e32 v13, v13, v38
	v_add_nc_u32_e32 v33, 0x1b00, v56
	ds_write2_b64 v32, v[18:19], v[20:21] offset1:17
	ds_write2_b64 v32, v[22:23], v[24:25] offset0:34 offset1:51
	ds_write2_b64 v32, v[26:27], v[28:29] offset0:68 offset1:85
	;; [unrolled: 1-line block ×5, first 2 shown]
	ds_write_b64 v32, v[4:5] offset:1632
	v_add_nc_u32_e32 v32, 0x2900, v56
	s_waitcnt lgkmcnt(0)
	s_barrier
	buffer_gl0_inv
	ds_read2_b64 v[16:19], v56 offset1:221
	ds_read2_b64 v[28:31], v34 offset0:26 offset1:247
	ds_read2_b64 v[24:27], v33 offset0:20 offset1:241
	;; [unrolled: 1-line block ×3, first 2 shown]
	s_and_saveexec_b32 s1, s0
	s_cbranch_execz .LBB0_23
; %bb.22:
	v_add_nc_u32_e32 v0, 0x400, v56
	v_add_nc_u32_e32 v1, 0x1200, v56
	;; [unrolled: 1-line block ×4, first 2 shown]
	ds_read2_b64 v[12:15], v0 offset0:8 offset1:229
	ds_read2_b64 v[8:11], v1 offset0:2 offset1:223
	;; [unrolled: 1-line block ×4, first 2 shown]
.LBB0_23:
	s_or_b32 exec_lo, exec_lo, s1
	v_mul_u32_u24_e32 v35, 7, v40
	v_lshlrev_b32_e32 v39, 3, v35
	s_clause 0x3
	global_load_dwordx4 v[35:38], v39, s[8:9] offset:1632
	global_load_dwordx4 v[44:47], v39, s[8:9] offset:1648
	;; [unrolled: 1-line block ×3, first 2 shown]
	global_load_dwordx2 v[52:53], v39, s[8:9] offset:1680
	s_waitcnt vmcnt(0) lgkmcnt(0)
	s_barrier
	buffer_gl0_inv
	v_mul_f32_e32 v39, v36, v19
	v_mul_f32_e32 v36, v36, v18
	;; [unrolled: 1-line block ×14, first 2 shown]
	v_fma_f32 v18, v35, v18, -v39
	v_fmac_f32_e32 v36, v35, v19
	v_fma_f32 v19, v37, v28, -v41
	v_fmac_f32_e32 v38, v37, v29
	;; [unrolled: 2-line block ×7, first 2 shown]
	v_sub_f32_e32 v22, v16, v24
	v_sub_f32_e32 v23, v17, v47
	v_sub_f32_e32 v20, v19, v20
	v_sub_f32_e32 v24, v38, v51
	v_sub_f32_e32 v25, v18, v25
	v_sub_f32_e32 v26, v36, v49
	v_sub_f32_e32 v21, v28, v21
	v_sub_f32_e32 v27, v45, v53
	v_fma_f32 v29, v16, 2.0, -v22
	v_fma_f32 v30, v17, 2.0, -v23
	;; [unrolled: 1-line block ×8, first 2 shown]
	v_sub_f32_e32 v35, v22, v24
	v_add_f32_e32 v36, v23, v20
	v_sub_f32_e32 v24, v25, v27
	v_add_f32_e32 v27, v26, v21
	v_sub_f32_e32 v37, v29, v16
	v_sub_f32_e32 v38, v30, v17
	v_fma_f32 v39, v22, 2.0, -v35
	v_fma_f32 v41, v23, 2.0, -v36
	v_sub_f32_e32 v21, v18, v28
	v_sub_f32_e32 v20, v19, v31
	v_fma_f32 v25, v25, 2.0, -v24
	v_fma_f32 v26, v26, 2.0, -v27
	v_fmamk_f32 v16, v24, 0x3f3504f3, v35
	v_fmamk_f32 v17, v27, 0x3f3504f3, v36
	v_fma_f32 v28, v29, 2.0, -v37
	v_fma_f32 v29, v30, 2.0, -v38
	;; [unrolled: 1-line block ×4, first 2 shown]
	v_fmamk_f32 v18, v25, 0xbf3504f3, v39
	v_fmamk_f32 v19, v26, 0xbf3504f3, v41
	v_sub_f32_e32 v20, v37, v20
	v_add_f32_e32 v21, v38, v21
	v_fmac_f32_e32 v16, 0xbf3504f3, v27
	v_fmac_f32_e32 v17, 0x3f3504f3, v24
	v_sub_f32_e32 v22, v28, v22
	v_sub_f32_e32 v23, v29, v23
	v_fmac_f32_e32 v18, 0xbf3504f3, v26
	v_fmac_f32_e32 v19, 0x3f3504f3, v25
	v_fma_f32 v24, v37, 2.0, -v20
	v_fma_f32 v25, v38, 2.0, -v21
	;; [unrolled: 1-line block ×8, first 2 shown]
	ds_write2_b64 v34, v[24:25], v[26:27] offset0:26 offset1:247
	ds_write2_b64 v33, v[22:23], v[18:19] offset0:20 offset1:241
	ds_write2_b64 v56, v[28:29], v[30:31] offset1:221
	ds_write2_b64 v32, v[20:21], v[16:17] offset0:14 offset1:235
	s_and_saveexec_b32 s1, s0
	s_cbranch_execz .LBB0_25
; %bb.24:
	v_add_nc_u32_e32 v16, 0x88, v40
	v_add_nc_u32_e32 v17, 0xffffffab, v40
	;; [unrolled: 1-line block ×4, first 2 shown]
	v_cndmask_b32_e64 v16, v17, v16, s0
	v_mov_b32_e32 v17, 0
	v_mul_i32_i24_e32 v16, 7, v16
	v_lshlrev_b64 v[16:17], 3, v[16:17]
	v_add_co_u32 v28, s0, s8, v16
	v_add_co_ci_u32_e64 v29, s0, s9, v17, s0
	s_clause 0x3
	global_load_dwordx4 v[16:19], v[28:29], off offset:1632
	global_load_dwordx4 v[20:23], v[28:29], off offset:1664
	;; [unrolled: 1-line block ×3, first 2 shown]
	global_load_dwordx2 v[28:29], v[28:29], off offset:1680
	s_waitcnt vmcnt(3)
	v_mul_f32_e32 v32, v9, v19
	s_waitcnt vmcnt(2)
	v_mul_f32_e32 v33, v1, v23
	;; [unrolled: 2-line block ×3, first 2 shown]
	v_mul_f32_e32 v35, v15, v17
	v_mul_f32_e32 v36, v7, v21
	;; [unrolled: 1-line block ×3, first 2 shown]
	s_waitcnt vmcnt(0)
	v_mul_f32_e32 v38, v2, v29
	v_mul_f32_e32 v25, v11, v25
	v_mul_f32_e32 v29, v3, v29
	v_mul_f32_e32 v17, v14, v17
	v_mul_f32_e32 v21, v6, v21
	v_mul_f32_e32 v27, v5, v27
	v_mul_f32_e32 v19, v8, v19
	v_mul_f32_e32 v23, v0, v23
	v_fma_f32 v8, v8, v18, -v32
	v_fma_f32 v0, v0, v22, -v33
	v_fmac_f32_e32 v34, v5, v26
	v_fma_f32 v5, v14, v16, -v35
	v_fma_f32 v6, v6, v20, -v36
	v_fmac_f32_e32 v37, v11, v24
	v_fmac_f32_e32 v38, v3, v28
	v_fma_f32 v3, v10, v24, -v25
	v_fma_f32 v2, v2, v28, -v29
	v_fmac_f32_e32 v17, v15, v16
	v_fmac_f32_e32 v21, v7, v20
	v_fma_f32 v4, v4, v26, -v27
	v_fmac_f32_e32 v19, v9, v18
	v_fmac_f32_e32 v23, v1, v22
	v_sub_f32_e32 v0, v8, v0
	v_sub_f32_e32 v7, v13, v34
	;; [unrolled: 1-line block ×8, first 2 shown]
	v_add_f32_e32 v11, v7, v0
	v_sub_f32_e32 v14, v6, v1
	v_add_f32_e32 v15, v9, v2
	v_fma_f32 v13, v13, 2.0, -v7
	v_sub_f32_e32 v18, v4, v10
	v_fma_f32 v10, v19, 2.0, -v10
	v_fma_f32 v19, v5, 2.0, -v6
	v_fma_f32 v2, v3, 2.0, -v2
	v_fma_f32 v12, v12, 2.0, -v4
	v_fma_f32 v3, v8, 2.0, -v0
	v_fma_f32 v8, v17, 2.0, -v9
	v_fma_f32 v5, v37, 2.0, -v1
	v_fmamk_f32 v1, v15, 0x3f3504f3, v11
	v_sub_f32_e32 v10, v13, v10
	v_sub_f32_e32 v17, v19, v2
	;; [unrolled: 1-line block ×4, first 2 shown]
	v_fma_f32 v22, v7, 2.0, -v11
	v_fma_f32 v23, v6, 2.0, -v14
	v_fma_f32 v24, v9, 2.0, -v15
	v_fma_f32 v25, v4, 2.0, -v18
	v_fmamk_f32 v0, v14, 0x3f3504f3, v18
	v_fmac_f32_e32 v1, 0x3f3504f3, v14
	v_add_f32_e32 v3, v10, v17
	v_sub_f32_e32 v2, v20, v21
	v_fmamk_f32 v5, v24, 0xbf3504f3, v22
	v_fmamk_f32 v4, v23, 0xbf3504f3, v25
	v_fma_f32 v14, v13, 2.0, -v10
	v_fma_f32 v8, v8, 2.0, -v21
	;; [unrolled: 1-line block ×4, first 2 shown]
	v_fmac_f32_e32 v0, 0xbf3504f3, v15
	v_fma_f32 v7, v11, 2.0, -v1
	v_fma_f32 v9, v10, 2.0, -v3
	v_fmac_f32_e32 v5, 0x3f3504f3, v23
	v_fmac_f32_e32 v4, 0xbf3504f3, v24
	v_sub_f32_e32 v11, v14, v8
	v_sub_f32_e32 v10, v21, v12
	v_fma_f32 v6, v18, 2.0, -v0
	v_fma_f32 v8, v20, 2.0, -v2
	v_add_nc_u32_e32 v16, 0x1f00, v56
	v_fma_f32 v13, v22, 2.0, -v5
	v_fma_f32 v12, v25, 2.0, -v4
	;; [unrolled: 1-line block ×4, first 2 shown]
	v_add_nc_u32_e32 v17, 0x2d00, v56
	ds_write2_b64 v31, v[8:9], v[6:7] offset0:2 offset1:223
	ds_write2_b64 v16, v[10:11], v[4:5] offset0:28 offset1:249
	;; [unrolled: 1-line block ×4, first 2 shown]
.LBB0_25:
	s_or_b32 exec_lo, exec_lo, s1
	s_waitcnt lgkmcnt(0)
	s_barrier
	buffer_gl0_inv
	s_and_saveexec_b32 s0, vcc_lo
	s_cbranch_execz .LBB0_27
; %bb.26:
	v_lshl_add_u32 v22, v40, 3, 0
	v_mov_b32_e32 v41, 0
	v_add_nc_u32_e32 v4, 0x88, v40
	v_add_co_u32 v23, vcc_lo, s2, v42
	v_add_nc_u32_e32 v6, 0x800, v22
	v_mov_b32_e32 v5, v41
	v_lshlrev_b64 v[8:9], 3, v[40:41]
	ds_read2_b64 v[0:3], v22 offset1:136
	v_add_co_ci_u32_e32 v24, vcc_lo, s3, v43, vcc_lo
	v_add_nc_u32_e32 v12, 0x110, v40
	v_mov_b32_e32 v13, v41
	v_lshlrev_b64 v[10:11], 3, v[4:5]
	ds_read2_b64 v[4:7], v6 offset0:16 offset1:152
	v_add_co_u32 v14, vcc_lo, v23, v8
	v_add_co_ci_u32_e32 v15, vcc_lo, v24, v9, vcc_lo
	v_lshlrev_b64 v[8:9], 3, v[12:13]
	v_add_co_u32 v12, vcc_lo, v23, v10
	v_add_nc_u32_e32 v10, 0x1000, v22
	v_add_co_ci_u32_e32 v13, vcc_lo, v24, v11, vcc_lo
	v_add_co_u32 v18, vcc_lo, v23, v8
	v_add_nc_u32_e32 v16, 0x198, v40
	v_mov_b32_e32 v17, v41
	v_add_co_ci_u32_e32 v19, vcc_lo, v24, v9, vcc_lo
	ds_read2_b64 v[8:11], v10 offset0:32 offset1:168
	v_add_nc_u32_e32 v20, 0x220, v40
	v_mov_b32_e32 v21, v41
	v_lshlrev_b64 v[16:17], 3, v[16:17]
	s_waitcnt lgkmcnt(2)
	global_store_dwordx2 v[14:15], v[0:1], off
	global_store_dwordx2 v[12:13], v[2:3], off
	s_waitcnt lgkmcnt(1)
	global_store_dwordx2 v[18:19], v[4:5], off
	v_add_nc_u32_e32 v14, 0x1800, v22
	v_add_nc_u32_e32 v4, 0x2a8, v40
	v_lshlrev_b64 v[0:1], 3, v[20:21]
	v_mov_b32_e32 v5, v41
	v_add_co_u32 v2, vcc_lo, v23, v16
	v_add_co_ci_u32_e32 v3, vcc_lo, v24, v17, vcc_lo
	v_add_co_u32 v0, vcc_lo, v23, v0
	v_add_co_ci_u32_e32 v1, vcc_lo, v24, v1, vcc_lo
	global_store_dwordx2 v[2:3], v[6:7], off
	s_waitcnt lgkmcnt(0)
	global_store_dwordx2 v[0:1], v[8:9], off
	v_add_nc_u32_e32 v12, 0x330, v40
	v_mov_b32_e32 v13, v41
	ds_read2_b64 v[0:3], v14 offset0:48 offset1:184
	v_lshlrev_b64 v[4:5], 3, v[4:5]
	v_add_nc_u32_e32 v8, 0x3b8, v40
	v_mov_b32_e32 v9, v41
	v_lshlrev_b64 v[6:7], 3, v[12:13]
	v_add_nc_u32_e32 v12, 0x440, v40
	v_add_nc_u32_e32 v14, 0x2000, v22
	v_add_co_u32 v4, vcc_lo, v23, v4
	v_lshlrev_b64 v[8:9], 3, v[8:9]
	v_add_co_ci_u32_e32 v5, vcc_lo, v24, v5, vcc_lo
	v_add_co_u32 v6, vcc_lo, v23, v6
	v_add_co_ci_u32_e32 v7, vcc_lo, v24, v7, vcc_lo
	v_add_co_u32 v8, vcc_lo, v23, v8
	v_add_co_ci_u32_e32 v9, vcc_lo, v24, v9, vcc_lo
	global_store_dwordx2 v[4:5], v[10:11], off
	s_waitcnt lgkmcnt(0)
	global_store_dwordx2 v[6:7], v[0:1], off
	global_store_dwordx2 v[8:9], v[2:3], off
	v_lshlrev_b64 v[4:5], 3, v[12:13]
	ds_read2_b64 v[0:3], v14 offset0:64 offset1:200
	v_add_nc_u32_e32 v6, 0x4c8, v40
	v_mov_b32_e32 v7, v41
	v_add_nc_u32_e32 v14, 0x2800, v22
	v_add_nc_u32_e32 v8, 0x550, v40
	v_mov_b32_e32 v9, v41
	v_add_co_u32 v10, vcc_lo, v23, v4
	v_add_co_ci_u32_e32 v11, vcc_lo, v24, v5, vcc_lo
	v_lshlrev_b64 v[12:13], 3, v[6:7]
	ds_read2_b64 v[4:7], v14 offset0:80 offset1:216
	v_add_nc_u32_e32 v14, 0x5d8, v40
	v_mov_b32_e32 v15, v41
	ds_read_b64 v[16:17], v22 offset:13056
	v_lshlrev_b64 v[8:9], 3, v[8:9]
	v_add_nc_u32_e32 v40, 0x660, v40
	v_add_co_u32 v12, vcc_lo, v23, v12
	v_lshlrev_b64 v[14:15], 3, v[14:15]
	v_add_co_ci_u32_e32 v13, vcc_lo, v24, v13, vcc_lo
	v_add_co_u32 v8, vcc_lo, v23, v8
	v_lshlrev_b64 v[18:19], 3, v[40:41]
	v_add_co_ci_u32_e32 v9, vcc_lo, v24, v9, vcc_lo
	v_add_co_u32 v14, vcc_lo, v23, v14
	v_add_co_ci_u32_e32 v15, vcc_lo, v24, v15, vcc_lo
	v_add_co_u32 v18, vcc_lo, v23, v18
	v_add_co_ci_u32_e32 v19, vcc_lo, v24, v19, vcc_lo
	s_waitcnt lgkmcnt(2)
	global_store_dwordx2 v[10:11], v[0:1], off
	global_store_dwordx2 v[12:13], v[2:3], off
	s_waitcnt lgkmcnt(1)
	global_store_dwordx2 v[8:9], v[4:5], off
	global_store_dwordx2 v[14:15], v[6:7], off
	s_waitcnt lgkmcnt(0)
	global_store_dwordx2 v[18:19], v[16:17], off
.LBB0_27:
	s_endpgm
	.section	.rodata,"a",@progbits
	.p2align	6, 0x0
	.amdhsa_kernel fft_rtc_fwd_len1768_factors_17_13_8_wgs_136_tpt_136_halfLds_sp_ip_CI_unitstride_sbrr_C2R_dirReg
		.amdhsa_group_segment_fixed_size 0
		.amdhsa_private_segment_fixed_size 0
		.amdhsa_kernarg_size 88
		.amdhsa_user_sgpr_count 6
		.amdhsa_user_sgpr_private_segment_buffer 1
		.amdhsa_user_sgpr_dispatch_ptr 0
		.amdhsa_user_sgpr_queue_ptr 0
		.amdhsa_user_sgpr_kernarg_segment_ptr 1
		.amdhsa_user_sgpr_dispatch_id 0
		.amdhsa_user_sgpr_flat_scratch_init 0
		.amdhsa_user_sgpr_private_segment_size 0
		.amdhsa_wavefront_size32 1
		.amdhsa_uses_dynamic_stack 0
		.amdhsa_system_sgpr_private_segment_wavefront_offset 0
		.amdhsa_system_sgpr_workgroup_id_x 1
		.amdhsa_system_sgpr_workgroup_id_y 0
		.amdhsa_system_sgpr_workgroup_id_z 0
		.amdhsa_system_sgpr_workgroup_info 0
		.amdhsa_system_vgpr_workitem_id 0
		.amdhsa_next_free_vgpr 200
		.amdhsa_next_free_sgpr 21
		.amdhsa_reserve_vcc 1
		.amdhsa_reserve_flat_scratch 0
		.amdhsa_float_round_mode_32 0
		.amdhsa_float_round_mode_16_64 0
		.amdhsa_float_denorm_mode_32 3
		.amdhsa_float_denorm_mode_16_64 3
		.amdhsa_dx10_clamp 1
		.amdhsa_ieee_mode 1
		.amdhsa_fp16_overflow 0
		.amdhsa_workgroup_processor_mode 1
		.amdhsa_memory_ordered 1
		.amdhsa_forward_progress 0
		.amdhsa_shared_vgpr_count 0
		.amdhsa_exception_fp_ieee_invalid_op 0
		.amdhsa_exception_fp_denorm_src 0
		.amdhsa_exception_fp_ieee_div_zero 0
		.amdhsa_exception_fp_ieee_overflow 0
		.amdhsa_exception_fp_ieee_underflow 0
		.amdhsa_exception_fp_ieee_inexact 0
		.amdhsa_exception_int_div_zero 0
	.end_amdhsa_kernel
	.text
.Lfunc_end0:
	.size	fft_rtc_fwd_len1768_factors_17_13_8_wgs_136_tpt_136_halfLds_sp_ip_CI_unitstride_sbrr_C2R_dirReg, .Lfunc_end0-fft_rtc_fwd_len1768_factors_17_13_8_wgs_136_tpt_136_halfLds_sp_ip_CI_unitstride_sbrr_C2R_dirReg
                                        ; -- End function
	.section	.AMDGPU.csdata,"",@progbits
; Kernel info:
; codeLenInByte = 13228
; NumSgprs: 23
; NumVgprs: 200
; ScratchSize: 0
; MemoryBound: 0
; FloatMode: 240
; IeeeMode: 1
; LDSByteSize: 0 bytes/workgroup (compile time only)
; SGPRBlocks: 2
; VGPRBlocks: 24
; NumSGPRsForWavesPerEU: 23
; NumVGPRsForWavesPerEU: 200
; Occupancy: 4
; WaveLimiterHint : 1
; COMPUTE_PGM_RSRC2:SCRATCH_EN: 0
; COMPUTE_PGM_RSRC2:USER_SGPR: 6
; COMPUTE_PGM_RSRC2:TRAP_HANDLER: 0
; COMPUTE_PGM_RSRC2:TGID_X_EN: 1
; COMPUTE_PGM_RSRC2:TGID_Y_EN: 0
; COMPUTE_PGM_RSRC2:TGID_Z_EN: 0
; COMPUTE_PGM_RSRC2:TIDIG_COMP_CNT: 0
	.text
	.p2alignl 6, 3214868480
	.fill 48, 4, 3214868480
	.type	__hip_cuid_7f9e61d373df11ef,@object ; @__hip_cuid_7f9e61d373df11ef
	.section	.bss,"aw",@nobits
	.globl	__hip_cuid_7f9e61d373df11ef
__hip_cuid_7f9e61d373df11ef:
	.byte	0                               ; 0x0
	.size	__hip_cuid_7f9e61d373df11ef, 1

	.ident	"AMD clang version 19.0.0git (https://github.com/RadeonOpenCompute/llvm-project roc-6.4.0 25133 c7fe45cf4b819c5991fe208aaa96edf142730f1d)"
	.section	".note.GNU-stack","",@progbits
	.addrsig
	.addrsig_sym __hip_cuid_7f9e61d373df11ef
	.amdgpu_metadata
---
amdhsa.kernels:
  - .args:
      - .actual_access:  read_only
        .address_space:  global
        .offset:         0
        .size:           8
        .value_kind:     global_buffer
      - .offset:         8
        .size:           8
        .value_kind:     by_value
      - .actual_access:  read_only
        .address_space:  global
        .offset:         16
        .size:           8
        .value_kind:     global_buffer
      - .actual_access:  read_only
        .address_space:  global
        .offset:         24
        .size:           8
        .value_kind:     global_buffer
      - .offset:         32
        .size:           8
        .value_kind:     by_value
      - .actual_access:  read_only
        .address_space:  global
        .offset:         40
        .size:           8
        .value_kind:     global_buffer
      - .actual_access:  read_only
        .address_space:  global
        .offset:         48
        .size:           8
        .value_kind:     global_buffer
      - .offset:         56
        .size:           4
        .value_kind:     by_value
      - .actual_access:  read_only
        .address_space:  global
        .offset:         64
        .size:           8
        .value_kind:     global_buffer
      - .actual_access:  read_only
        .address_space:  global
        .offset:         72
        .size:           8
        .value_kind:     global_buffer
      - .address_space:  global
        .offset:         80
        .size:           8
        .value_kind:     global_buffer
    .group_segment_fixed_size: 0
    .kernarg_segment_align: 8
    .kernarg_segment_size: 88
    .language:       OpenCL C
    .language_version:
      - 2
      - 0
    .max_flat_workgroup_size: 136
    .name:           fft_rtc_fwd_len1768_factors_17_13_8_wgs_136_tpt_136_halfLds_sp_ip_CI_unitstride_sbrr_C2R_dirReg
    .private_segment_fixed_size: 0
    .sgpr_count:     23
    .sgpr_spill_count: 0
    .symbol:         fft_rtc_fwd_len1768_factors_17_13_8_wgs_136_tpt_136_halfLds_sp_ip_CI_unitstride_sbrr_C2R_dirReg.kd
    .uniform_work_group_size: 1
    .uses_dynamic_stack: false
    .vgpr_count:     200
    .vgpr_spill_count: 0
    .wavefront_size: 32
    .workgroup_processor_mode: 1
amdhsa.target:   amdgcn-amd-amdhsa--gfx1030
amdhsa.version:
  - 1
  - 2
...

	.end_amdgpu_metadata
